;; amdgpu-corpus repo=ROCm/rocFFT kind=compiled arch=gfx906 opt=O3
	.text
	.amdgcn_target "amdgcn-amd-amdhsa--gfx906"
	.amdhsa_code_object_version 6
	.protected	fft_rtc_back_len1575_factors_3_3_5_7_5_wgs_63_tpt_63_halfLds_dp_op_CI_CI_sbrr_dirReg ; -- Begin function fft_rtc_back_len1575_factors_3_3_5_7_5_wgs_63_tpt_63_halfLds_dp_op_CI_CI_sbrr_dirReg
	.globl	fft_rtc_back_len1575_factors_3_3_5_7_5_wgs_63_tpt_63_halfLds_dp_op_CI_CI_sbrr_dirReg
	.p2align	8
	.type	fft_rtc_back_len1575_factors_3_3_5_7_5_wgs_63_tpt_63_halfLds_dp_op_CI_CI_sbrr_dirReg,@function
fft_rtc_back_len1575_factors_3_3_5_7_5_wgs_63_tpt_63_halfLds_dp_op_CI_CI_sbrr_dirReg: ; @fft_rtc_back_len1575_factors_3_3_5_7_5_wgs_63_tpt_63_halfLds_dp_op_CI_CI_sbrr_dirReg
; %bb.0:
	s_load_dwordx4 s[16:19], s[4:5], 0x18
	s_load_dwordx4 s[12:15], s[4:5], 0x0
	;; [unrolled: 1-line block ×3, first 2 shown]
	v_mul_u32_u24_e32 v1, 0x411, v0
	v_add_u32_sdwa v6, s6, v1 dst_sel:DWORD dst_unused:UNUSED_PAD src0_sel:DWORD src1_sel:WORD_1
	s_waitcnt lgkmcnt(0)
	s_load_dwordx2 s[2:3], s[16:17], 0x0
	s_load_dwordx2 s[20:21], s[18:19], 0x0
	v_cmp_lt_u64_e64 s[0:1], s[14:15], 2
	v_mov_b32_e32 v1, 0
	v_mov_b32_e32 v4, 0
	;; [unrolled: 1-line block ×3, first 2 shown]
	s_and_b64 vcc, exec, s[0:1]
	v_mov_b32_e32 v5, 0
	s_cbranch_vccnz .LBB0_8
; %bb.1:
	s_load_dwordx2 s[0:1], s[4:5], 0x10
	s_add_u32 s6, s18, 8
	s_addc_u32 s7, s19, 0
	s_add_u32 s22, s16, 8
	v_mov_b32_e32 v4, 0
	s_addc_u32 s23, s17, 0
	v_mov_b32_e32 v5, 0
	s_waitcnt lgkmcnt(0)
	s_add_u32 s24, s0, 8
	v_mov_b32_e32 v141, v5
	s_addc_u32 s25, s1, 0
	s_mov_b64 s[26:27], 1
	v_mov_b32_e32 v140, v4
.LBB0_2:                                ; =>This Inner Loop Header: Depth=1
	s_load_dwordx2 s[28:29], s[24:25], 0x0
                                        ; implicit-def: $vgpr142_vgpr143
	s_waitcnt lgkmcnt(0)
	v_or_b32_e32 v2, s29, v7
	v_cmp_ne_u64_e32 vcc, 0, v[1:2]
	s_and_saveexec_b64 s[0:1], vcc
	s_xor_b64 s[30:31], exec, s[0:1]
	s_cbranch_execz .LBB0_4
; %bb.3:                                ;   in Loop: Header=BB0_2 Depth=1
	v_cvt_f32_u32_e32 v2, s28
	v_cvt_f32_u32_e32 v3, s29
	s_sub_u32 s0, 0, s28
	s_subb_u32 s1, 0, s29
	v_mac_f32_e32 v2, 0x4f800000, v3
	v_rcp_f32_e32 v2, v2
	v_mul_f32_e32 v2, 0x5f7ffffc, v2
	v_mul_f32_e32 v3, 0x2f800000, v2
	v_trunc_f32_e32 v3, v3
	v_mac_f32_e32 v2, 0xcf800000, v3
	v_cvt_u32_f32_e32 v3, v3
	v_cvt_u32_f32_e32 v2, v2
	v_mul_lo_u32 v8, s0, v3
	v_mul_hi_u32 v9, s0, v2
	v_mul_lo_u32 v11, s1, v2
	v_mul_lo_u32 v10, s0, v2
	v_add_u32_e32 v8, v9, v8
	v_add_u32_e32 v8, v8, v11
	v_mul_hi_u32 v9, v2, v10
	v_mul_lo_u32 v11, v2, v8
	v_mul_hi_u32 v13, v2, v8
	v_mul_hi_u32 v12, v3, v10
	v_mul_lo_u32 v10, v3, v10
	v_mul_hi_u32 v14, v3, v8
	v_add_co_u32_e32 v9, vcc, v9, v11
	v_addc_co_u32_e32 v11, vcc, 0, v13, vcc
	v_mul_lo_u32 v8, v3, v8
	v_add_co_u32_e32 v9, vcc, v9, v10
	v_addc_co_u32_e32 v9, vcc, v11, v12, vcc
	v_addc_co_u32_e32 v10, vcc, 0, v14, vcc
	v_add_co_u32_e32 v8, vcc, v9, v8
	v_addc_co_u32_e32 v9, vcc, 0, v10, vcc
	v_add_co_u32_e32 v2, vcc, v2, v8
	v_addc_co_u32_e32 v3, vcc, v3, v9, vcc
	v_mul_lo_u32 v8, s0, v3
	v_mul_hi_u32 v9, s0, v2
	v_mul_lo_u32 v10, s1, v2
	v_mul_lo_u32 v11, s0, v2
	v_add_u32_e32 v8, v9, v8
	v_add_u32_e32 v8, v8, v10
	v_mul_lo_u32 v12, v2, v8
	v_mul_hi_u32 v13, v2, v11
	v_mul_hi_u32 v14, v2, v8
	;; [unrolled: 1-line block ×3, first 2 shown]
	v_mul_lo_u32 v11, v3, v11
	v_mul_hi_u32 v9, v3, v8
	v_add_co_u32_e32 v12, vcc, v13, v12
	v_addc_co_u32_e32 v13, vcc, 0, v14, vcc
	v_mul_lo_u32 v8, v3, v8
	v_add_co_u32_e32 v11, vcc, v12, v11
	v_addc_co_u32_e32 v10, vcc, v13, v10, vcc
	v_addc_co_u32_e32 v9, vcc, 0, v9, vcc
	v_add_co_u32_e32 v8, vcc, v10, v8
	v_addc_co_u32_e32 v9, vcc, 0, v9, vcc
	v_add_co_u32_e32 v8, vcc, v2, v8
	v_addc_co_u32_e32 v9, vcc, v3, v9, vcc
	v_mad_u64_u32 v[2:3], s[0:1], v6, v9, 0
	v_mul_hi_u32 v10, v6, v8
	v_add_co_u32_e32 v10, vcc, v10, v2
	v_addc_co_u32_e32 v11, vcc, 0, v3, vcc
	v_mad_u64_u32 v[2:3], s[0:1], v7, v8, 0
	v_mad_u64_u32 v[8:9], s[0:1], v7, v9, 0
	v_add_co_u32_e32 v2, vcc, v10, v2
	v_addc_co_u32_e32 v2, vcc, v11, v3, vcc
	v_addc_co_u32_e32 v3, vcc, 0, v9, vcc
	v_add_co_u32_e32 v8, vcc, v2, v8
	v_addc_co_u32_e32 v9, vcc, 0, v3, vcc
	v_mul_lo_u32 v10, s29, v8
	v_mul_lo_u32 v11, s28, v9
	v_mad_u64_u32 v[2:3], s[0:1], s28, v8, 0
	v_add3_u32 v3, v3, v11, v10
	v_sub_u32_e32 v10, v7, v3
	v_mov_b32_e32 v11, s29
	v_sub_co_u32_e32 v2, vcc, v6, v2
	v_subb_co_u32_e64 v10, s[0:1], v10, v11, vcc
	v_subrev_co_u32_e64 v11, s[0:1], s28, v2
	v_subbrev_co_u32_e64 v10, s[0:1], 0, v10, s[0:1]
	v_cmp_le_u32_e64 s[0:1], s29, v10
	v_cndmask_b32_e64 v12, 0, -1, s[0:1]
	v_cmp_le_u32_e64 s[0:1], s28, v11
	v_cndmask_b32_e64 v11, 0, -1, s[0:1]
	v_cmp_eq_u32_e64 s[0:1], s29, v10
	v_cndmask_b32_e64 v10, v12, v11, s[0:1]
	v_add_co_u32_e64 v11, s[0:1], 2, v8
	v_addc_co_u32_e64 v12, s[0:1], 0, v9, s[0:1]
	v_add_co_u32_e64 v13, s[0:1], 1, v8
	v_addc_co_u32_e64 v14, s[0:1], 0, v9, s[0:1]
	v_subb_co_u32_e32 v3, vcc, v7, v3, vcc
	v_cmp_ne_u32_e64 s[0:1], 0, v10
	v_cmp_le_u32_e32 vcc, s29, v3
	v_cndmask_b32_e64 v10, v14, v12, s[0:1]
	v_cndmask_b32_e64 v12, 0, -1, vcc
	v_cmp_le_u32_e32 vcc, s28, v2
	v_cndmask_b32_e64 v2, 0, -1, vcc
	v_cmp_eq_u32_e32 vcc, s29, v3
	v_cndmask_b32_e32 v2, v12, v2, vcc
	v_cmp_ne_u32_e32 vcc, 0, v2
	v_cndmask_b32_e64 v2, v13, v11, s[0:1]
	v_cndmask_b32_e32 v143, v9, v10, vcc
	v_cndmask_b32_e32 v142, v8, v2, vcc
.LBB0_4:                                ;   in Loop: Header=BB0_2 Depth=1
	s_andn2_saveexec_b64 s[0:1], s[30:31]
	s_cbranch_execz .LBB0_6
; %bb.5:                                ;   in Loop: Header=BB0_2 Depth=1
	v_cvt_f32_u32_e32 v2, s28
	s_sub_i32 s30, 0, s28
	v_mov_b32_e32 v143, v1
	v_rcp_iflag_f32_e32 v2, v2
	v_mul_f32_e32 v2, 0x4f7ffffe, v2
	v_cvt_u32_f32_e32 v2, v2
	v_mul_lo_u32 v3, s30, v2
	v_mul_hi_u32 v3, v2, v3
	v_add_u32_e32 v2, v2, v3
	v_mul_hi_u32 v2, v6, v2
	v_mul_lo_u32 v3, v2, s28
	v_add_u32_e32 v8, 1, v2
	v_sub_u32_e32 v3, v6, v3
	v_subrev_u32_e32 v9, s28, v3
	v_cmp_le_u32_e32 vcc, s28, v3
	v_cndmask_b32_e32 v3, v3, v9, vcc
	v_cndmask_b32_e32 v2, v2, v8, vcc
	v_add_u32_e32 v8, 1, v2
	v_cmp_le_u32_e32 vcc, s28, v3
	v_cndmask_b32_e32 v142, v2, v8, vcc
.LBB0_6:                                ;   in Loop: Header=BB0_2 Depth=1
	s_or_b64 exec, exec, s[0:1]
	v_mul_lo_u32 v8, v143, s28
	v_mul_lo_u32 v9, v142, s29
	v_mad_u64_u32 v[2:3], s[0:1], v142, s28, 0
	s_load_dwordx2 s[0:1], s[22:23], 0x0
	s_load_dwordx2 s[28:29], s[6:7], 0x0
	v_add3_u32 v3, v3, v9, v8
	v_sub_co_u32_e32 v2, vcc, v6, v2
	v_subb_co_u32_e32 v3, vcc, v7, v3, vcc
	s_waitcnt lgkmcnt(0)
	v_mul_lo_u32 v6, s0, v3
	v_mul_lo_u32 v7, s1, v2
	v_mad_u64_u32 v[4:5], s[0:1], s0, v2, v[4:5]
	v_mul_lo_u32 v3, s28, v3
	v_mul_lo_u32 v8, s29, v2
	v_mad_u64_u32 v[140:141], s[0:1], s28, v2, v[140:141]
	s_add_u32 s26, s26, 1
	s_addc_u32 s27, s27, 0
	s_add_u32 s6, s6, 8
	v_add3_u32 v141, v8, v141, v3
	s_addc_u32 s7, s7, 0
	v_mov_b32_e32 v2, s14
	s_add_u32 s22, s22, 8
	v_mov_b32_e32 v3, s15
	s_addc_u32 s23, s23, 0
	v_cmp_ge_u64_e32 vcc, s[26:27], v[2:3]
	s_add_u32 s24, s24, 8
	v_add3_u32 v5, v7, v5, v6
	s_addc_u32 s25, s25, 0
	s_cbranch_vccnz .LBB0_9
; %bb.7:                                ;   in Loop: Header=BB0_2 Depth=1
	v_mov_b32_e32 v6, v142
	v_mov_b32_e32 v7, v143
	s_branch .LBB0_2
.LBB0_8:
	v_mov_b32_e32 v141, v5
	v_mov_b32_e32 v143, v7
	;; [unrolled: 1-line block ×4, first 2 shown]
.LBB0_9:
	s_load_dwordx2 s[0:1], s[4:5], 0x28
	s_lshl_b64 s[14:15], s[14:15], 3
	s_add_u32 s4, s18, s14
	s_addc_u32 s5, s19, s15
                                        ; implicit-def: $vgpr154
                                        ; implicit-def: $vgpr155
                                        ; implicit-def: $vgpr156
                                        ; implicit-def: $vgpr157
                                        ; implicit-def: $vgpr158
                                        ; implicit-def: $vgpr166
                                        ; implicit-def: $vgpr165
                                        ; implicit-def: $vgpr167
	s_waitcnt lgkmcnt(0)
	v_cmp_gt_u64_e32 vcc, s[0:1], v[142:143]
	v_cmp_le_u64_e64 s[0:1], s[0:1], v[142:143]
	s_and_saveexec_b64 s[6:7], s[0:1]
	s_xor_b64 s[0:1], exec, s[6:7]
; %bb.10:
	s_mov_b32 s6, 0x4104105
	v_mul_hi_u32 v1, v0, s6
                                        ; implicit-def: $vgpr4_vgpr5
	v_mul_u32_u24_e32 v1, 63, v1
	v_sub_u32_e32 v154, v0, v1
	v_add_u32_e32 v155, 63, v154
	v_add_u32_e32 v156, 0x7e, v154
	v_add_u32_e32 v157, 0xbd, v154
	v_add_u32_e32 v158, 0xfc, v154
	v_add_u32_e32 v166, 0x13b, v154
	v_add_u32_e32 v165, 0x17a, v154
	v_add_u32_e32 v167, 0x1b9, v154
                                        ; implicit-def: $vgpr0
; %bb.11:
	s_or_saveexec_b64 s[6:7], s[0:1]
	s_load_dwordx2 s[4:5], s[4:5], 0x0
                                        ; implicit-def: $vgpr106_vgpr107
                                        ; implicit-def: $vgpr102_vgpr103
                                        ; implicit-def: $vgpr98_vgpr99
                                        ; implicit-def: $vgpr34_vgpr35
                                        ; implicit-def: $vgpr42_vgpr43
                                        ; implicit-def: $vgpr46_vgpr47
                                        ; implicit-def: $vgpr38_vgpr39
                                        ; implicit-def: $vgpr26_vgpr27
                                        ; implicit-def: $vgpr30_vgpr31
                                        ; implicit-def: $vgpr50_vgpr51
                                        ; implicit-def: $vgpr58_vgpr59
                                        ; implicit-def: $vgpr62_vgpr63
                                        ; implicit-def: $vgpr54_vgpr55
                                        ; implicit-def: $vgpr70_vgpr71
                                        ; implicit-def: $vgpr74_vgpr75
                                        ; implicit-def: $vgpr66_vgpr67
                                        ; implicit-def: $vgpr90_vgpr91
                                        ; implicit-def: $vgpr78_vgpr79
                                        ; implicit-def: $vgpr94_vgpr95
                                        ; implicit-def: $vgpr82_vgpr83
                                        ; implicit-def: $vgpr86_vgpr87
                                        ; implicit-def: $vgpr18_vgpr19
                                        ; implicit-def: $vgpr22_vgpr23
                                        ; implicit-def: $vgpr10_vgpr11
                                        ; implicit-def: $vgpr14_vgpr15
                                        ; implicit-def: $vgpr6_vgpr7
                                        ; implicit-def: $vgpr2_vgpr3
	s_xor_b64 exec, exec, s[6:7]
	s_cbranch_execz .LBB0_15
; %bb.12:
	s_add_u32 s0, s16, s14
	s_mov_b32 s14, 0x4104105
	s_addc_u32 s1, s17, s15
	v_mul_hi_u32 v1, v0, s14
	s_load_dwordx2 s[0:1], s[0:1], 0x0
	v_mul_u32_u24_e32 v1, 63, v1
	v_sub_u32_e32 v154, v0, v1
	s_waitcnt lgkmcnt(0)
	v_mul_lo_u32 v8, s1, v142
	v_mad_u64_u32 v[0:1], s[14:15], s2, v154, 0
	v_mul_lo_u32 v9, s0, v143
	v_mad_u64_u32 v[2:3], s[0:1], s0, v142, 0
	v_add_u32_e32 v155, 63, v154
	v_add_u32_e32 v26, 0x459, v154
	v_mad_u64_u32 v[6:7], s[0:1], s3, v154, v[1:2]
	v_add3_u32 v3, v3, v9, v8
	v_lshlrev_b64 v[2:3], 4, v[2:3]
	v_mov_b32_e32 v1, v6
	v_mov_b32_e32 v6, s9
	v_add_co_u32_e64 v7, s[0:1], s8, v2
	v_add_u32_e32 v8, 0x20d, v154
	v_addc_co_u32_e64 v6, s[0:1], v6, v3, s[0:1]
	v_lshlrev_b64 v[2:3], 4, v[4:5]
	v_mad_u64_u32 v[4:5], s[0:1], s2, v8, 0
	v_add_co_u32_e64 v106, s[0:1], v7, v2
	v_mov_b32_e32 v2, v5
	v_addc_co_u32_e64 v107, s[0:1], v6, v3, s[0:1]
	v_mad_u64_u32 v[2:3], s[0:1], s3, v8, v[2:3]
	v_lshlrev_b64 v[0:1], 4, v[0:1]
	v_add_u32_e32 v156, 0x7e, v154
	v_add_co_u32_e64 v8, s[0:1], v106, v0
	v_mov_b32_e32 v5, v2
	v_add_u32_e32 v2, 0x41a, v154
	v_addc_co_u32_e64 v9, s[0:1], v107, v1, s[0:1]
	v_mad_u64_u32 v[10:11], s[0:1], s2, v2, 0
	v_lshlrev_b64 v[0:1], 4, v[4:5]
	v_add_u32_e32 v33, 0x28b, v154
	v_add_co_u32_e64 v12, s[0:1], v106, v0
	v_mov_b32_e32 v0, v11
	v_addc_co_u32_e64 v13, s[0:1], v107, v1, s[0:1]
	v_mad_u64_u32 v[14:15], s[0:1], s3, v2, v[0:1]
	v_mad_u64_u32 v[15:16], s[0:1], s2, v155, 0
	v_mov_b32_e32 v11, v14
	global_load_dwordx4 v[0:3], v[8:9], off
	global_load_dwordx4 v[4:7], v[12:13], off
	v_lshlrev_b64 v[8:9], 4, v[10:11]
	v_mov_b32_e32 v10, v16
	v_mad_u64_u32 v[10:11], s[0:1], s3, v155, v[10:11]
	v_add_co_u32_e64 v17, s[0:1], v106, v8
	v_mov_b32_e32 v16, v10
	v_add_u32_e32 v10, 0x24c, v154
	v_addc_co_u32_e64 v18, s[0:1], v107, v9, s[0:1]
	v_mad_u64_u32 v[19:20], s[0:1], s2, v10, 0
	v_lshlrev_b64 v[8:9], 4, v[15:16]
	v_add_u32_e32 v157, 0xbd, v154
	v_add_co_u32_e64 v21, s[0:1], v106, v8
	v_mov_b32_e32 v8, v20
	v_addc_co_u32_e64 v22, s[0:1], v107, v9, s[0:1]
	v_mad_u64_u32 v[23:24], s[0:1], s3, v10, v[8:9]
	v_mad_u64_u32 v[24:25], s[0:1], s2, v26, 0
	global_load_dwordx4 v[12:15], v[17:18], off
	global_load_dwordx4 v[8:11], v[21:22], off
	v_mov_b32_e32 v20, v23
	v_mov_b32_e32 v18, v25
	v_lshlrev_b64 v[16:17], 4, v[19:20]
	v_mad_u64_u32 v[18:19], s[0:1], s3, v26, v[18:19]
	v_add_co_u32_e64 v26, s[0:1], v106, v16
	v_mov_b32_e32 v25, v18
	v_addc_co_u32_e64 v27, s[0:1], v107, v17, s[0:1]
	v_lshlrev_b64 v[16:17], 4, v[24:25]
	v_mad_u64_u32 v[24:25], s[0:1], s2, v156, 0
	v_add_co_u32_e64 v28, s[0:1], v106, v16
	v_mov_b32_e32 v16, v25
	v_addc_co_u32_e64 v29, s[0:1], v107, v17, s[0:1]
	v_mad_u64_u32 v[30:31], s[0:1], s3, v156, v[16:17]
	v_mad_u64_u32 v[31:32], s[0:1], s2, v33, 0
	global_load_dwordx4 v[20:23], v[26:27], off
	global_load_dwordx4 v[16:19], v[28:29], off
	v_mov_b32_e32 v25, v30
	v_mov_b32_e32 v26, v32
	v_mad_u64_u32 v[26:27], s[0:1], s3, v33, v[26:27]
	v_add_u32_e32 v33, 0x498, v154
	v_mad_u64_u32 v[27:28], s[0:1], s2, v33, 0
	v_lshlrev_b64 v[24:25], 4, v[24:25]
	v_mov_b32_e32 v32, v26
	v_add_co_u32_e64 v24, s[0:1], v106, v24
	v_mov_b32_e32 v26, v28
	v_addc_co_u32_e64 v25, s[0:1], v107, v25, s[0:1]
	v_lshlrev_b64 v[29:30], 4, v[31:32]
	v_mad_u64_u32 v[31:32], s[0:1], s3, v33, v[26:27]
	v_mad_u64_u32 v[32:33], s[0:1], s2, v157, 0
	v_mov_b32_e32 v28, v31
	v_add_co_u32_e64 v29, s[0:1], v106, v29
	v_lshlrev_b64 v[26:27], 4, v[27:28]
	v_mov_b32_e32 v28, v33
	v_addc_co_u32_e64 v30, s[0:1], v107, v30, s[0:1]
	v_mad_u64_u32 v[33:34], s[0:1], s3, v157, v[28:29]
	v_add_u32_e32 v31, 0x2ca, v154
	v_mad_u64_u32 v[34:35], s[0:1], s2, v31, 0
	v_add_co_u32_e64 v36, s[0:1], v106, v26
	v_mov_b32_e32 v28, v35
	v_addc_co_u32_e64 v37, s[0:1], v107, v27, s[0:1]
	v_lshlrev_b64 v[26:27], 4, v[32:33]
	v_mad_u64_u32 v[31:32], s[0:1], s3, v31, v[28:29]
	v_add_u32_e32 v40, 0x4d7, v154
	v_mad_u64_u32 v[32:33], s[0:1], s2, v40, 0
	v_add_co_u32_e64 v38, s[0:1], v106, v26
	v_mov_b32_e32 v35, v31
	v_mov_b32_e32 v28, v33
	v_addc_co_u32_e64 v39, s[0:1], v107, v27, s[0:1]
	v_lshlrev_b64 v[26:27], 4, v[34:35]
	v_mad_u64_u32 v[33:34], s[0:1], s3, v40, v[28:29]
	v_add_u32_e32 v158, 0xfc, v154
	v_mad_u64_u32 v[34:35], s[0:1], s2, v158, 0
	v_add_co_u32_e64 v40, s[0:1], v106, v26
	v_mov_b32_e32 v28, v35
	v_addc_co_u32_e64 v41, s[0:1], v107, v27, s[0:1]
	v_lshlrev_b64 v[26:27], 4, v[32:33]
	v_mad_u64_u32 v[31:32], s[0:1], s3, v158, v[28:29]
	v_add_u32_e32 v44, 0x309, v154
	v_mad_u64_u32 v[32:33], s[0:1], s2, v44, 0
	v_add_co_u32_e64 v42, s[0:1], v106, v26
	v_mov_b32_e32 v35, v31
	v_mov_b32_e32 v28, v33
	v_addc_co_u32_e64 v43, s[0:1], v107, v27, s[0:1]
	v_lshlrev_b64 v[26:27], 4, v[34:35]
	;; [unrolled: 15-line block ×6, first 2 shown]
	v_mad_u64_u32 v[33:34], s[0:1], s3, v167, v[28:29]
	v_add_co_u32_e64 v110, s[0:1], v106, v26
	v_add_u32_e32 v28, 0x3c6, v154
	v_addc_co_u32_e64 v111, s[0:1], v107, v27, s[0:1]
	v_lshlrev_b64 v[26:27], 4, v[32:33]
	v_mad_u64_u32 v[31:32], s[0:1], s2, v28, 0
	v_add_co_u32_e64 v112, s[0:1], v106, v26
	v_mov_b32_e32 v26, v32
	v_addc_co_u32_e64 v113, s[0:1], v107, v27, s[0:1]
	v_mad_u64_u32 v[26:27], s[0:1], s3, v28, v[26:27]
	v_add_u32_e32 v33, 0x5d3, v154
	v_mad_u64_u32 v[27:28], s[0:1], s2, v33, 0
	v_mov_b32_e32 v32, v26
	global_load_dwordx4 v[84:87], v[24:25], off
	global_load_dwordx4 v[80:83], v[29:30], off
	v_mov_b32_e32 v26, v28
	v_mad_u64_u32 v[28:29], s[0:1], s3, v33, v[26:27]
	v_lshlrev_b64 v[24:25], 4, v[31:32]
	v_add_co_u32_e64 v114, s[0:1], v106, v24
	v_addc_co_u32_e64 v115, s[0:1], v107, v25, s[0:1]
	v_lshlrev_b64 v[24:25], 4, v[27:28]
	v_add_co_u32_e64 v116, s[0:1], v106, v24
	v_addc_co_u32_e64 v117, s[0:1], v107, v25, s[0:1]
	global_load_dwordx4 v[92:95], v[36:37], off
	global_load_dwordx4 v[76:79], v[38:39], off
	;; [unrolled: 1-line block ×12, first 2 shown]
                                        ; kill: killed $vgpr104 killed $vgpr105
                                        ; kill: killed $vgpr98 killed $vgpr99
                                        ; kill: killed $vgpr44 killed $vgpr45
                                        ; kill: killed $vgpr108 killed $vgpr109
                                        ; kill: killed $vgpr38 killed $vgpr39
                                        ; kill: killed $vgpr100 killed $vgpr101
                                        ; kill: killed $vgpr46 killed $vgpr47
                                        ; kill: killed $vgpr40 killed $vgpr41
                                        ; kill: killed $vgpr102 killed $vgpr103
                                        ; kill: killed $vgpr96 killed $vgpr97
                                        ; kill: killed $vgpr42 killed $vgpr43
                                        ; kill: killed $vgpr36 killed $vgpr37
	global_load_dwordx4 v[36:39], v[110:111], off
	global_load_dwordx4 v[44:47], v[112:113], off
	;; [unrolled: 1-line block ×4, first 2 shown]
	v_cmp_gt_u32_e64 s[0:1], 21, v154
                                        ; implicit-def: $vgpr96_vgpr97
                                        ; implicit-def: $vgpr100_vgpr101
                                        ; implicit-def: $vgpr104_vgpr105
	s_and_saveexec_b64 s[8:9], s[0:1]
	s_cbranch_execz .LBB0_14
; %bb.13:
	v_add_u32_e32 v100, 0x1f8, v154
	v_add_u32_e32 v102, 0x405, v154
	v_mad_u64_u32 v[96:97], s[0:1], s2, v100, 0
	v_mad_u64_u32 v[98:99], s[0:1], s2, v102, 0
	;; [unrolled: 1-line block ×3, first 2 shown]
	v_mov_b32_e32 v97, v100
	v_mad_u64_u32 v[99:100], s[0:1], s3, v102, v[99:100]
	v_add_u32_e32 v100, 0x612, v154
	v_mad_u64_u32 v[104:105], s[0:1], s2, v100, 0
	v_lshlrev_b64 v[96:97], 4, v[96:97]
	v_add_co_u32_e64 v108, s[0:1], v106, v96
	v_addc_co_u32_e64 v109, s[0:1], v107, v97, s[0:1]
	v_lshlrev_b64 v[96:97], 4, v[98:99]
	v_mov_b32_e32 v98, v105
	v_mad_u64_u32 v[110:111], s[0:1], s3, v100, v[98:99]
	v_add_co_u32_e64 v111, s[0:1], v106, v96
	v_mov_b32_e32 v105, v110
	v_lshlrev_b64 v[104:105], 4, v[104:105]
	v_addc_co_u32_e64 v112, s[0:1], v107, v97, s[0:1]
	v_add_co_u32_e64 v104, s[0:1], v106, v104
	v_addc_co_u32_e64 v105, s[0:1], v107, v105, s[0:1]
	global_load_dwordx4 v[96:99], v[108:109], off
	global_load_dwordx4 v[100:103], v[111:112], off
	s_nop 0
	global_load_dwordx4 v[104:107], v[104:105], off
.LBB0_14:
	s_or_b64 exec, exec, s[8:9]
.LBB0_15:
	s_or_b64 exec, exec, s[6:7]
	s_waitcnt vmcnt(21)
	v_add_f64 v[108:109], v[12:13], v[4:5]
	s_waitcnt vmcnt(18)
	v_add_f64 v[114:115], v[16:17], v[20:21]
	v_add_f64 v[110:111], v[4:5], v[0:1]
	v_add_f64 v[112:113], v[6:7], -v[14:15]
	s_waitcnt vmcnt(15)
	v_add_f64 v[118:119], v[92:93], v[80:81]
	v_add_f64 v[116:117], v[22:23], -v[18:19]
	s_mov_b32 s0, 0xe8584caa
	s_mov_b32 s1, 0xbfebb67a
	v_fma_f64 v[0:1], v[108:109], -0.5, v[0:1]
	v_add_f64 v[108:109], v[20:21], v[8:9]
	v_fma_f64 v[8:9], v[114:115], -0.5, v[8:9]
	s_mov_b32 s3, 0x3febb67a
	s_mov_b32 s2, s0
	v_add_f64 v[110:111], v[12:13], v[110:111]
	v_add_f64 v[120:121], v[82:83], -v[94:95]
	v_mad_u32_u24 v122, v154, 24, 0
	v_fma_f64 v[114:115], v[112:113], s[0:1], v[0:1]
	v_fma_f64 v[0:1], v[112:113], s[2:3], v[0:1]
	v_add_f64 v[112:113], v[80:81], v[84:85]
	v_fma_f64 v[84:85], v[118:119], -0.5, v[84:85]
	v_add_f64 v[108:109], v[16:17], v[108:109]
	v_fma_f64 v[118:119], v[116:117], s[0:1], v[8:9]
	v_fma_f64 v[8:9], v[116:117], s[2:3], v[8:9]
	v_mad_i32_i24 v164, v166, 24, 0
	ds_write2_b64 v122, v[110:111], v[114:115] offset1:1
	ds_write_b64 v122, v[0:1] offset:16
	s_waitcnt vmcnt(12)
	v_add_f64 v[114:115], v[64:65], v[88:89]
	v_add_f64 v[110:111], v[92:93], v[112:113]
	v_fma_f64 v[112:113], v[120:121], s[0:1], v[84:85]
	v_mad_i32_i24 v0, v155, 24, 0
	ds_write2_b64 v0, v[108:109], v[118:119] offset1:1
	ds_write_b64 v0, v[8:9] offset:16
	s_waitcnt vmcnt(9)
	v_add_f64 v[8:9], v[52:53], v[68:69]
	v_fma_f64 v[84:85], v[120:121], s[2:3], v[84:85]
	v_add_f64 v[108:109], v[88:89], v[76:77]
	v_mad_i32_i24 v1, v156, 24, 0
	v_fma_f64 v[76:77], v[114:115], -0.5, v[76:77]
	ds_write2_b64 v1, v[110:111], v[112:113] offset1:1
	v_add_f64 v[110:111], v[90:91], -v[66:67]
	v_add_f64 v[112:113], v[68:69], v[72:73]
	v_fma_f64 v[72:73], v[8:9], -0.5, v[72:73]
	v_add_f64 v[114:115], v[70:71], -v[54:55]
	ds_write_b64 v1, v[84:85] offset:16
	v_add_f64 v[84:85], v[64:65], v[108:109]
	s_waitcnt vmcnt(6)
	v_add_f64 v[108:109], v[48:49], v[56:57]
	v_mad_i32_i24 v8, v157, 24, 0
	v_fma_f64 v[116:117], v[110:111], s[0:1], v[76:77]
	v_fma_f64 v[76:77], v[110:111], s[2:3], v[76:77]
	v_add_f64 v[110:111], v[52:53], v[112:113]
	v_fma_f64 v[112:113], v[114:115], s[0:1], v[72:73]
	v_fma_f64 v[72:73], v[114:115], s[2:3], v[72:73]
	v_add_f64 v[114:115], v[56:57], v[60:61]
	v_fma_f64 v[60:61], v[108:109], -0.5, v[60:61]
	v_add_f64 v[108:109], v[58:59], -v[50:51]
	ds_write2_b64 v8, v[84:85], v[116:117] offset1:1
	ds_write_b64 v8, v[76:77] offset:16
	s_waitcnt vmcnt(3)
	v_add_f64 v[76:77], v[36:37], v[24:25]
	v_mad_i32_i24 v9, v158, 24, 0
	ds_write2_b64 v9, v[110:111], v[112:113] offset1:1
	ds_write_b64 v9, v[72:73] offset:16
	v_add_f64 v[72:73], v[48:49], v[114:115]
	s_waitcnt vmcnt(0)
	v_add_f64 v[110:111], v[32:33], v[40:41]
	v_fma_f64 v[84:85], v[108:109], s[0:1], v[60:61]
	v_add_f64 v[112:113], v[104:105], v[100:101]
	v_fma_f64 v[60:61], v[108:109], s[2:3], v[60:61]
	v_add_f64 v[108:109], v[24:25], v[28:29]
	v_fma_f64 v[28:29], v[76:77], -0.5, v[28:29]
	v_add_f64 v[76:77], v[26:27], -v[38:39]
	ds_write2_b64 v164, v[72:73], v[84:85] offset1:1
	ds_write_b64 v164, v[60:61] offset:16
	v_add_f64 v[72:73], v[40:41], v[44:45]
	v_fma_f64 v[44:45], v[110:111], -0.5, v[44:45]
	v_add_f64 v[84:85], v[42:43], -v[34:35]
	v_fma_f64 v[110:111], v[112:113], -0.5, v[96:97]
	v_add_f64 v[112:113], v[102:103], -v[106:107]
	v_add_f64 v[96:97], v[100:101], v[96:97]
	v_add_f64 v[60:61], v[36:37], v[108:109]
	v_fma_f64 v[108:109], v[76:77], s[0:1], v[28:29]
	v_fma_f64 v[28:29], v[76:77], s[2:3], v[28:29]
	v_add_f64 v[72:73], v[32:33], v[72:73]
	v_fma_f64 v[76:77], v[84:85], s[0:1], v[44:45]
	v_fma_f64 v[84:85], v[84:85], s[2:3], v[44:45]
	;; [unrolled: 1-line block ×4, first 2 shown]
	v_add_f64 v[44:45], v[104:105], v[96:97]
	v_mad_i32_i24 v168, v165, 24, 0
	ds_write_b64 v168, v[28:29] offset:16
	v_mul_u32_u24_e32 v28, 24, v154
	v_mad_i32_i24 v169, v167, 24, 0
	v_cmp_gt_u32_e64 s[0:1], 21, v154
	v_add_u32_e32 v28, 0, v28
	ds_write2_b64 v168, v[60:61], v[108:109] offset1:1
	ds_write2_b64 v169, v[72:73], v[76:77] offset1:1
	ds_write_b64 v169, v[84:85] offset:16
	s_and_saveexec_b64 s[2:3], s[0:1]
	s_cbranch_execz .LBB0_17
; %bb.16:
	v_add_u32_e32 v29, 0x2f40, v28
	ds_write2_b64 v29, v[44:45], v[146:147] offset1:1
	ds_write_b64 v28, v[144:145] offset:12112
.LBB0_17:
	s_or_b64 exec, exec, s[2:3]
	v_lshl_add_u32 v159, v154, 3, 0
	v_lshlrev_b32_e32 v29, 4, v155
	v_add_u32_e32 v60, 0x1000, v159
	v_add_u32_e32 v61, 0x2000, v159
	v_sub_u32_e32 v72, v0, v29
	v_lshlrev_b32_e32 v161, 4, v156
	v_lshlrev_b32_e32 v162, 4, v157
	s_waitcnt lgkmcnt(0)
	; wave barrier
	s_waitcnt lgkmcnt(0)
	ds_read2_b64 v[128:131], v60 offset0:13 offset1:76
	ds_read2_b64 v[132:135], v61 offset0:26 offset1:89
	v_sub_u32_e32 v73, v1, v161
	ds_read2_b64 v[136:139], v60 offset0:139 offset1:202
	ds_read2_b64 v[124:127], v61 offset0:152 offset1:215
	v_sub_u32_e32 v60, v8, v162
	ds_read_b64 v[152:153], v159
	ds_read_b64 v[150:151], v72
	;; [unrolled: 1-line block ×4, first 2 shown]
	v_lshlrev_b32_e32 v163, 4, v158
	v_add_u32_e32 v61, 0x1800, v159
	v_add_u32_e32 v72, 0x2800, v159
	v_lshlrev_b32_e32 v170, 4, v166
	v_lshlrev_b32_e32 v172, 4, v167
	v_sub_u32_e32 v60, v9, v163
	ds_read2_b64 v[120:123], v61 offset0:9 offset1:72
	ds_read2_b64 v[116:119], v72 offset0:22 offset1:85
	v_sub_u32_e32 v73, v164, v170
	v_lshlrev_b32_e32 v171, 4, v165
	ds_read2_b64 v[112:115], v61 offset0:135 offset1:198
	ds_read2_b64 v[108:111], v72 offset0:148 offset1:211
	v_sub_u32_e32 v61, v169, v172
	v_sub_u32_e32 v160, v168, v171
	ds_read_b64 v[96:97], v60
	ds_read_b64 v[84:85], v73
	;; [unrolled: 1-line block ×4, first 2 shown]
	s_and_saveexec_b64 s[2:3], s[0:1]
	s_cbranch_execz .LBB0_19
; %bb.18:
	ds_read_b64 v[44:45], v159 offset:4032
	ds_read_b64 v[146:147], v159 offset:8232
	;; [unrolled: 1-line block ×3, first 2 shown]
.LBB0_19:
	s_or_b64 exec, exec, s[2:3]
	v_add_f64 v[173:174], v[14:15], v[6:7]
	v_add_f64 v[6:7], v[6:7], v[2:3]
	v_add_f64 v[4:5], v[4:5], -v[12:13]
	v_add_f64 v[16:17], v[20:21], -v[16:17]
	v_add_f64 v[20:21], v[82:83], v[86:87]
	s_mov_b32 s2, 0xe8584caa
	s_mov_b32 s3, 0x3febb67a
	;; [unrolled: 1-line block ×3, first 2 shown]
	v_fma_f64 v[12:13], v[173:174], -0.5, v[2:3]
	v_sub_u32_e32 v2, 0, v171
	v_sub_u32_e32 v171, 0, v172
	v_add_f64 v[172:173], v[18:19], v[22:23]
	v_add_f64 v[22:23], v[22:23], v[10:11]
	s_mov_b32 s6, s2
	v_add_f64 v[6:7], v[14:15], v[6:7]
	v_add_f64 v[174:175], v[94:95], v[82:83]
	v_fma_f64 v[14:15], v[4:5], s[2:3], v[12:13]
	v_fma_f64 v[3:4], v[4:5], s[6:7], v[12:13]
	v_add_f64 v[64:65], v[88:89], -v[64:65]
	v_fma_f64 v[10:11], v[172:173], -0.5, v[10:11]
	v_add_f64 v[12:13], v[18:19], v[22:23]
	v_add_f64 v[18:19], v[66:67], v[90:91]
	;; [unrolled: 1-line block ×3, first 2 shown]
	v_add_f64 v[52:53], v[68:69], -v[52:53]
	v_add_f64 v[58:59], v[58:59], v[62:63]
	v_add_f64 v[48:49], v[56:57], -v[48:49]
	v_sub_u32_e32 v160, 0, v29
	v_fma_f64 v[82:83], v[16:17], s[2:3], v[10:11]
	v_fma_f64 v[10:11], v[16:17], s[6:7], v[10:11]
	v_add_f64 v[16:17], v[94:95], v[20:21]
	v_add_f64 v[20:21], v[54:55], v[70:71]
	v_fma_f64 v[18:19], v[18:19], -0.5, v[78:79]
	v_add_f64 v[70:71], v[70:71], v[74:75]
	v_fma_f64 v[62:63], v[88:89], -0.5, v[62:63]
	v_add_f64 v[50:51], v[50:51], v[58:59]
	v_add_f64 v[24:25], v[24:25], -v[36:37]
	v_add_f64 v[36:37], v[42:43], v[46:47]
	v_fma_f64 v[22:23], v[174:175], -0.5, v[86:87]
	v_fma_f64 v[20:21], v[20:21], -0.5, v[74:75]
	v_fma_f64 v[68:69], v[64:65], s[2:3], v[18:19]
	v_fma_f64 v[18:19], v[64:65], s[6:7], v[18:19]
	v_add_f64 v[64:65], v[54:55], v[70:71]
	v_add_f64 v[54:55], v[38:39], v[26:27]
	v_fma_f64 v[57:58], v[48:49], s[2:3], v[62:63]
	v_fma_f64 v[48:49], v[48:49], s[6:7], v[62:63]
	v_add_f64 v[62:63], v[106:107], v[102:103]
	v_fma_f64 v[70:71], v[52:53], s[2:3], v[20:21]
	v_fma_f64 v[20:21], v[52:53], s[6:7], v[20:21]
	v_add_f64 v[52:53], v[34:35], v[42:43]
	v_add_f64 v[26:27], v[26:27], v[30:31]
	v_fma_f64 v[29:30], v[54:55], -0.5, v[30:31]
	v_add_f64 v[31:32], v[40:41], -v[32:33]
	v_add_f64 v[40:41], v[102:103], v[98:99]
	v_add_f64 v[80:81], v[80:81], -v[92:93]
	v_add_f64 v[86:87], v[90:91], v[78:79]
	v_sub_u32_e32 v161, 0, v161
	v_fma_f64 v[42:43], v[52:53], -0.5, v[46:47]
	v_fma_f64 v[52:53], v[62:63], -0.5, v[98:99]
	v_add_f64 v[62:63], v[100:101], -v[104:105]
	v_sub_u32_e32 v162, 0, v162
	v_add_f64 v[46:47], v[106:107], v[40:41]
	v_fma_f64 v[78:79], v[80:81], s[2:3], v[22:23]
	v_fma_f64 v[22:23], v[80:81], s[6:7], v[22:23]
	v_add_f64 v[66:67], v[66:67], v[86:87]
	v_sub_u32_e32 v163, 0, v163
	v_sub_u32_e32 v170, 0, v170
	v_fma_f64 v[54:55], v[62:63], s[2:3], v[52:53]
	v_fma_f64 v[52:53], v[62:63], s[6:7], v[52:53]
	v_add_u32_e32 v56, 0x1f8, v154
	v_add_f64 v[26:27], v[38:39], v[26:27]
	v_fma_f64 v[38:39], v[24:25], s[2:3], v[29:30]
	v_fma_f64 v[24:25], v[24:25], s[6:7], v[29:30]
	v_add_f64 v[29:30], v[34:35], v[36:37]
	v_fma_f64 v[33:34], v[31:32], s[2:3], v[42:43]
	v_fma_f64 v[31:32], v[31:32], s[6:7], v[42:43]
	s_waitcnt lgkmcnt(0)
	; wave barrier
	s_waitcnt lgkmcnt(0)
	ds_write2_b64 v28, v[6:7], v[14:15] offset1:1
	ds_write_b64 v28, v[3:4] offset:16
	ds_write2_b64 v0, v[12:13], v[82:83] offset1:1
	ds_write_b64 v0, v[10:11] offset:16
	;; [unrolled: 2-line block ×8, first 2 shown]
	s_and_saveexec_b64 s[2:3], s[0:1]
	s_cbranch_execz .LBB0_21
; %bb.20:
	v_mad_u32_u24 v3, v56, 24, 0
	ds_write2_b64 v3, v[46:47], v[54:55] offset1:1
	ds_write_b64 v3, v[52:53] offset:16
.LBB0_21:
	s_or_b64 exec, exec, s[2:3]
	v_add_u32_e32 v3, 0x1000, v159
	v_add_u32_e32 v4, 0x2000, v159
	;; [unrolled: 1-line block ×9, first 2 shown]
	s_waitcnt lgkmcnt(0)
	; wave barrier
	s_waitcnt lgkmcnt(0)
	ds_read2_b64 v[24:27], v3 offset0:13 offset1:76
	ds_read2_b64 v[28:31], v4 offset0:26 offset1:89
	;; [unrolled: 1-line block ×4, first 2 shown]
	v_add_u32_e32 v162, v8, v162
	ds_read_b64 v[50:51], v159
	ds_read_b64 v[48:49], v160
	;; [unrolled: 1-line block ×4, first 2 shown]
	ds_read2_b64 v[12:15], v0 offset0:9 offset1:72
	ds_read2_b64 v[8:11], v1 offset0:22 offset1:85
	v_add_u32_e32 v164, v164, v170
	ds_read2_b64 v[4:7], v0 offset0:135 offset1:198
	ds_read2_b64 v[0:3], v1 offset0:148 offset1:211
	ds_read_b64 v[40:41], v163
	ds_read_b64 v[36:37], v164
	;; [unrolled: 1-line block ×4, first 2 shown]
	s_and_saveexec_b64 s[2:3], s[0:1]
	s_cbranch_execz .LBB0_23
; %bb.22:
	ds_read_b64 v[46:47], v159 offset:4032
	ds_read_b64 v[54:55], v159 offset:8232
	;; [unrolled: 1-line block ×3, first 2 shown]
.LBB0_23:
	s_or_b64 exec, exec, s[2:3]
	s_movk_i32 s2, 0xab
	v_mul_lo_u16_sdwa v57, v154, s2 dst_sel:DWORD dst_unused:UNUSED_PAD src0_sel:BYTE_0 src1_sel:DWORD
	v_lshrrev_b16_e32 v226, 9, v57
	v_mul_lo_u16_e32 v57, 3, v226
	v_sub_u16_e32 v227, v154, v57
	v_mov_b32_e32 v57, 5
	v_lshlrev_b32_sdwa v58, v57, v227 dst_sel:DWORD dst_unused:UNUSED_PAD src0_sel:DWORD src1_sel:BYTE_0
	global_load_dwordx4 v[62:65], v58, s[12:13] offset:16
	global_load_dwordx4 v[66:69], v58, s[12:13]
	v_mul_lo_u16_sdwa v58, v155, s2 dst_sel:DWORD dst_unused:UNUSED_PAD src0_sel:BYTE_0 src1_sel:DWORD
	v_lshrrev_b16_e32 v228, 9, v58
	v_mul_lo_u16_e32 v58, 3, v228
	v_sub_u16_e32 v229, v155, v58
	v_lshlrev_b32_sdwa v58, v57, v229 dst_sel:DWORD dst_unused:UNUSED_PAD src0_sel:DWORD src1_sel:BYTE_0
	global_load_dwordx4 v[78:81], v58, s[12:13] offset:16
	global_load_dwordx4 v[86:89], v58, s[12:13]
	v_mul_lo_u16_sdwa v58, v156, s2 dst_sel:DWORD dst_unused:UNUSED_PAD src0_sel:BYTE_0 src1_sel:DWORD
	v_lshrrev_b16_e32 v230, 9, v58
	v_mul_lo_u16_e32 v58, 3, v230
	v_sub_u16_e32 v231, v156, v58
	;; [unrolled: 7-line block ×3, first 2 shown]
	v_lshlrev_b32_sdwa v57, v57, v233 dst_sel:DWORD dst_unused:UNUSED_PAD src0_sel:DWORD src1_sel:BYTE_0
	s_mov_b32 s2, 0xaaab
	global_load_dwordx4 v[172:175], v57, s[12:13]
	global_load_dwordx4 v[176:179], v57, s[12:13] offset:16
	v_mul_u32_u24_sdwa v57, v158, s2 dst_sel:DWORD dst_unused:UNUSED_PAD src0_sel:WORD_0 src1_sel:DWORD
	v_lshrrev_b32_e32 v234, 17, v57
	v_mul_lo_u16_e32 v57, 3, v234
	v_sub_u16_e32 v235, v158, v57
	v_lshlrev_b32_e32 v57, 5, v235
	global_load_dwordx4 v[180:183], v57, s[12:13] offset:16
	global_load_dwordx4 v[184:187], v57, s[12:13]
	v_mul_u32_u24_sdwa v57, v166, s2 dst_sel:DWORD dst_unused:UNUSED_PAD src0_sel:WORD_0 src1_sel:DWORD
	v_lshrrev_b32_e32 v236, 17, v57
	v_mul_lo_u16_e32 v57, 3, v236
	v_sub_u16_e32 v237, v166, v57
	v_lshlrev_b32_e32 v57, 5, v237
	global_load_dwordx4 v[188:191], v57, s[12:13]
	global_load_dwordx4 v[192:195], v57, s[12:13] offset:16
	v_mul_u32_u24_sdwa v57, v165, s2 dst_sel:DWORD dst_unused:UNUSED_PAD src0_sel:WORD_0 src1_sel:DWORD
	v_lshrrev_b32_e32 v238, 17, v57
	v_mul_lo_u16_e32 v57, 3, v238
	v_sub_u16_e32 v239, v165, v57
	v_lshlrev_b32_e32 v57, 5, v239
	global_load_dwordx4 v[196:199], v57, s[12:13] offset:16
	global_load_dwordx4 v[200:203], v57, s[12:13]
	v_mul_u32_u24_sdwa v58, v167, s2 dst_sel:DWORD dst_unused:UNUSED_PAD src0_sel:WORD_0 src1_sel:DWORD
	v_lshrrev_b32_e32 v240, 17, v58
	v_mul_lo_u16_e32 v57, 3, v240
	v_sub_u16_e32 v167, v167, v57
	v_lshlrev_b32_e32 v57, 5, v167
	global_load_dwordx4 v[204:207], v57, s[12:13]
	global_load_dwordx4 v[208:211], v57, s[12:13] offset:16
	v_mul_u32_u24_sdwa v57, v56, s2 dst_sel:DWORD dst_unused:UNUSED_PAD src0_sel:WORD_0 src1_sel:DWORD
	v_lshrrev_b32_e32 v241, 17, v57
	v_mul_lo_u16_e32 v57, 3, v241
	v_sub_u16_e32 v242, v56, v57
	v_lshlrev_b32_e32 v56, 5, v242
	global_load_dwordx4 v[212:215], v56, s[12:13]
	global_load_dwordx4 v[216:219], v56, s[12:13] offset:16
	s_mov_b32 s2, 0xe8584caa
	s_mov_b32 s3, 0xbfebb67a
	s_mov_b32 s7, 0x3febb67a
	s_mov_b32 s6, s2
	s_waitcnt lgkmcnt(0)
	; wave barrier
	s_waitcnt vmcnt(16) lgkmcnt(0)
	v_mul_f64 v[58:59], v[128:129], v[68:69]
	v_mul_f64 v[56:57], v[24:25], v[68:69]
	;; [unrolled: 1-line block ×4, first 2 shown]
	s_waitcnt vmcnt(14)
	v_mul_f64 v[74:75], v[26:27], v[88:89]
	v_mul_f64 v[82:83], v[130:131], v[88:89]
	;; [unrolled: 1-line block ×4, first 2 shown]
	v_fma_f64 v[100:101], v[24:25], v[66:67], -v[58:59]
	s_waitcnt vmcnt(13)
	v_mul_f64 v[220:221], v[16:17], v[170:171]
	s_waitcnt vmcnt(12)
	v_mul_f64 v[165:166], v[20:21], v[92:93]
	v_mul_f64 v[92:93], v[136:137], v[92:93]
	;; [unrolled: 1-line block ×3, first 2 shown]
	v_fma_f64 v[98:99], v[130:131], v[86:87], v[74:75]
	v_fma_f64 v[106:107], v[26:27], v[86:87], -v[82:83]
	v_fma_f64 v[102:103], v[132:133], v[62:63], v[68:69]
	s_waitcnt vmcnt(11)
	v_mul_f64 v[222:223], v[22:23], v[174:175]
	s_waitcnt vmcnt(10)
	v_mul_f64 v[224:225], v[18:19], v[178:179]
	v_mul_f64 v[178:179], v[126:127], v[178:179]
	;; [unrolled: 1-line block ×3, first 2 shown]
	v_fma_f64 v[92:93], v[20:21], v[90:91], -v[92:93]
	v_fma_f64 v[74:75], v[16:17], v[168:169], -v[170:171]
	s_waitcnt vmcnt(9)
	v_mul_f64 v[58:59], v[116:117], v[182:183]
	s_waitcnt vmcnt(8)
	v_mul_f64 v[16:17], v[12:13], v[186:187]
	v_mul_f64 v[20:21], v[120:121], v[186:187]
	v_fma_f64 v[70:71], v[28:29], v[62:63], -v[64:65]
	v_fma_f64 v[26:27], v[18:19], v[176:177], -v[178:179]
	v_fma_f64 v[104:105], v[134:135], v[78:79], v[88:89]
	s_waitcnt vmcnt(7)
	v_mul_f64 v[18:19], v[122:123], v[190:191]
	v_fma_f64 v[78:79], v[30:31], v[78:79], -v[80:81]
	v_fma_f64 v[80:81], v[22:23], v[172:173], -v[174:175]
	v_mul_f64 v[24:25], v[8:9], v[182:183]
	v_mul_f64 v[62:63], v[14:15], v[190:191]
	v_fma_f64 v[22:23], v[120:121], v[184:185], v[16:17]
	v_fma_f64 v[30:31], v[12:13], v[184:185], -v[20:21]
	s_waitcnt vmcnt(6)
	v_mul_f64 v[12:13], v[10:11], v[194:195]
	v_fma_f64 v[20:21], v[8:9], v[180:181], -v[58:59]
	v_mul_f64 v[8:9], v[118:119], v[194:195]
	v_fma_f64 v[58:59], v[14:15], v[188:189], -v[18:19]
	s_waitcnt vmcnt(4)
	v_mul_f64 v[14:15], v[4:5], v[202:203]
	v_mul_f64 v[16:17], v[112:113], v[202:203]
	;; [unrolled: 1-line block ×3, first 2 shown]
	v_fma_f64 v[94:95], v[128:129], v[66:67], v[56:57]
	v_fma_f64 v[56:57], v[116:117], v[180:181], v[24:25]
	;; [unrolled: 1-line block ×4, first 2 shown]
	v_mul_f64 v[62:63], v[0:1], v[198:199]
	s_waitcnt vmcnt(3)
	v_mul_f64 v[82:83], v[6:7], v[206:207]
	v_fma_f64 v[18:19], v[10:11], v[192:193], -v[8:9]
	v_mul_f64 v[86:87], v[114:115], v[206:207]
	v_fma_f64 v[8:9], v[112:113], v[200:201], v[14:15]
	v_fma_f64 v[12:13], v[4:5], v[200:201], -v[16:17]
	s_waitcnt vmcnt(2)
	v_mul_f64 v[112:113], v[2:3], v[210:211]
	v_fma_f64 v[4:5], v[0:1], v[196:197], -v[64:65]
	v_mul_f64 v[0:1], v[110:111], v[210:211]
	v_fma_f64 v[14:15], v[108:109], v[196:197], v[62:63]
	v_fma_f64 v[10:11], v[114:115], v[204:205], v[82:83]
	v_fma_f64 v[16:17], v[6:7], v[204:205], -v[86:87]
	s_waitcnt vmcnt(1)
	v_mul_f64 v[6:7], v[54:55], v[214:215]
	v_add_f64 v[62:63], v[94:95], v[102:103]
	v_fma_f64 v[82:83], v[110:111], v[208:209], v[112:113]
	v_mul_f64 v[64:65], v[146:147], v[214:215]
	s_waitcnt vmcnt(0)
	v_mul_f64 v[108:109], v[52:53], v[218:219]
	v_mul_f64 v[110:111], v[144:145], v[218:219]
	v_fma_f64 v[2:3], v[2:3], v[208:209], -v[0:1]
	v_add_f64 v[0:1], v[152:153], v[94:95]
	v_fma_f64 v[88:89], v[136:137], v[90:91], v[165:166]
	v_fma_f64 v[90:91], v[124:125], v[168:169], v[220:221]
	;; [unrolled: 1-line block ×5, first 2 shown]
	v_fma_f64 v[6:7], v[62:63], -0.5, v[152:153]
	v_add_f64 v[112:113], v[100:101], -v[70:71]
	v_fma_f64 v[62:63], v[54:55], v[212:213], -v[64:65]
	v_fma_f64 v[54:55], v[144:145], v[216:217], v[108:109]
	v_fma_f64 v[64:65], v[52:53], v[216:217], -v[110:111]
	v_add_f64 v[52:53], v[98:99], v[104:105]
	v_add_f64 v[108:109], v[0:1], v[102:103]
	;; [unrolled: 1-line block ×4, first 2 shown]
	v_fma_f64 v[110:111], v[112:113], s[2:3], v[6:7]
	v_add_f64 v[116:117], v[106:107], -v[78:79]
	v_fma_f64 v[112:113], v[112:113], s[6:7], v[6:7]
	v_add_f64 v[6:7], v[148:149], v[88:89]
	v_fma_f64 v[52:53], v[52:53], -0.5, v[150:151]
	v_add_f64 v[120:121], v[92:93], -v[74:75]
	v_add_f64 v[118:119], v[0:1], v[104:105]
	v_add_f64 v[0:1], v[28:29], v[68:69]
	v_fma_f64 v[114:115], v[114:115], -0.5, v[148:149]
	v_add_f64 v[128:129], v[96:97], v[22:23]
	v_add_f64 v[144:145], v[72:73], v[8:9]
	;; [unrolled: 1-line block ×3, first 2 shown]
	v_fma_f64 v[122:123], v[116:117], s[2:3], v[52:53]
	v_fma_f64 v[52:53], v[116:117], s[6:7], v[52:53]
	v_add_f64 v[116:117], v[76:77], v[28:29]
	v_add_f64 v[6:7], v[22:23], v[56:57]
	v_fma_f64 v[0:1], v[0:1], -0.5, v[76:77]
	v_add_f64 v[76:77], v[80:81], -v[26:27]
	v_fma_f64 v[126:127], v[120:121], s[2:3], v[114:115]
	v_fma_f64 v[114:115], v[120:121], s[6:7], v[114:115]
	v_add_f64 v[120:121], v[24:25], v[66:67]
	v_add_f64 v[146:147], v[60:61], v[10:11]
	v_add_f64 v[148:149], v[62:63], -v[64:65]
	v_fma_f64 v[6:7], v[6:7], -0.5, v[96:97]
	v_add_f64 v[96:97], v[30:31], -v[20:21]
	v_fma_f64 v[130:131], v[76:77], s[2:3], v[0:1]
	v_fma_f64 v[132:133], v[76:77], s[6:7], v[0:1]
	v_add_f64 v[0:1], v[84:85], v[24:25]
	v_fma_f64 v[76:77], v[120:121], -0.5, v[84:85]
	v_add_f64 v[120:121], v[128:129], v[56:57]
	v_add_f64 v[128:129], v[8:9], v[14:15]
	v_add_f64 v[84:85], v[58:59], -v[18:19]
	v_fma_f64 v[134:135], v[96:97], s[2:3], v[6:7]
	v_fma_f64 v[96:97], v[96:97], s[6:7], v[6:7]
	v_add_f64 v[6:7], v[10:11], v[82:83]
	v_add_f64 v[136:137], v[0:1], v[66:67]
	;; [unrolled: 1-line block ×4, first 2 shown]
	v_fma_f64 v[72:73], v[128:129], -0.5, v[72:73]
	v_add_f64 v[128:129], v[12:13], -v[4:5]
	v_fma_f64 v[138:139], v[84:85], s[2:3], v[76:77]
	v_fma_f64 v[150:151], v[84:85], s[6:7], v[76:77]
	v_fma_f64 v[6:7], v[6:7], -0.5, v[60:61]
	v_add_f64 v[60:61], v[16:17], -v[2:3]
	v_fma_f64 v[0:1], v[0:1], -0.5, v[44:45]
	v_mov_b32_e32 v77, 3
	v_lshlrev_b32_sdwa v76, v77, v229 dst_sel:DWORD dst_unused:UNUSED_PAD src0_sel:DWORD src1_sel:BYTE_0
	v_fma_f64 v[152:153], v[128:129], s[2:3], v[72:73]
	v_fma_f64 v[128:129], v[128:129], s[6:7], v[72:73]
	v_mul_u32_u24_e32 v72, 0x48, v226
	v_lshlrev_b32_sdwa v73, v77, v227 dst_sel:DWORD dst_unused:UNUSED_PAD src0_sel:DWORD src1_sel:BYTE_0
	v_add3_u32 v72, 0, v72, v73
	v_mul_u32_u24_e32 v73, 0x48, v228
	v_add_f64 v[144:145], v[144:145], v[14:15]
	v_add_f64 v[146:147], v[146:147], v[82:83]
	v_fma_f64 v[165:166], v[60:61], s[2:3], v[6:7]
	v_fma_f64 v[60:61], v[60:61], s[6:7], v[6:7]
	;; [unrolled: 1-line block ×4, first 2 shown]
	v_add3_u32 v73, 0, v73, v76
	ds_write2_b64 v72, v[108:109], v[110:111] offset1:3
	ds_write_b64 v72, v[112:113] offset:48
	ds_write2_b64 v73, v[118:119], v[122:123] offset1:3
	ds_write_b64 v73, v[52:53] offset:48
	v_mul_u32_u24_e32 v52, 0x48, v230
	v_lshlrev_b32_sdwa v53, v77, v231 dst_sel:DWORD dst_unused:UNUSED_PAD src0_sel:DWORD src1_sel:BYTE_0
	v_add3_u32 v76, 0, v52, v53
	v_mul_u32_u24_e32 v52, 0x48, v232
	v_lshlrev_b32_sdwa v53, v77, v233 dst_sel:DWORD dst_unused:UNUSED_PAD src0_sel:DWORD src1_sel:BYTE_0
	v_add3_u32 v77, 0, v52, v53
	v_mul_u32_u24_e32 v52, 0x48, v234
	v_lshlrev_b32_e32 v53, 3, v235
	v_add3_u32 v84, 0, v52, v53
	v_mul_u32_u24_e32 v52, 0x48, v236
	v_lshlrev_b32_e32 v53, 3, v237
	;; [unrolled: 3-line block ×4, first 2 shown]
	ds_write2_b64 v76, v[124:125], v[126:127] offset1:3
	ds_write_b64 v76, v[114:115] offset:48
	ds_write2_b64 v77, v[116:117], v[130:131] offset1:3
	ds_write_b64 v77, v[132:133] offset:48
	;; [unrolled: 2-line block ×3, first 2 shown]
	v_add3_u32 v111, 0, v52, v53
	v_mul_lo_u16_e32 v96, 9, v241
	v_lshlrev_b32_e32 v97, 3, v242
	ds_write2_b64 v85, v[136:137], v[138:139] offset1:3
	ds_write_b64 v85, v[150:151] offset:48
	ds_write2_b64 v110, v[144:145], v[152:153] offset1:3
	ds_write_b64 v110, v[128:129] offset:48
	;; [unrolled: 2-line block ×3, first 2 shown]
	s_and_saveexec_b64 s[8:9], s[0:1]
	s_cbranch_execz .LBB0_25
; %bb.24:
	v_add_f64 v[44:45], v[44:45], v[86:87]
	v_lshlrev_b32_e32 v52, 3, v96
	v_add3_u32 v52, 0, v97, v52
	v_add_f64 v[44:45], v[44:45], v[54:55]
	ds_write2_b64 v52, v[44:45], v[6:7] offset1:3
	ds_write_b64 v52, v[0:1] offset:48
.LBB0_25:
	s_or_b64 exec, exec, s[8:9]
	v_add_f64 v[44:45], v[100:101], v[70:71]
	v_add_f64 v[52:53], v[106:107], v[78:79]
	;; [unrolled: 1-line block ×3, first 2 shown]
	v_add_f64 v[94:95], v[94:95], -v[102:103]
	v_add_f64 v[100:101], v[48:49], v[106:107]
	v_add_f64 v[98:99], v[98:99], -v[104:105]
	v_add_f64 v[102:103], v[92:93], v[74:75]
	v_add_f64 v[28:29], v[28:29], -v[68:69]
	v_fma_f64 v[44:45], v[44:45], -0.5, v[50:51]
	v_fma_f64 v[48:49], v[52:53], -0.5, v[48:49]
	v_add_f64 v[52:53], v[88:89], -v[90:91]
	v_add_f64 v[88:89], v[80:81], v[26:27]
	v_add_f64 v[50:51], v[42:43], v[92:93]
	v_add_f64 v[22:23], v[22:23], -v[56:57]
	v_fma_f64 v[42:43], v[102:103], -0.5, v[42:43]
	v_add_f64 v[24:25], v[24:25], -v[66:67]
	v_fma_f64 v[90:91], v[94:95], s[6:7], v[44:45]
	v_fma_f64 v[92:93], v[94:95], s[2:3], v[44:45]
	;; [unrolled: 1-line block ×4, first 2 shown]
	v_add_f64 v[44:45], v[38:39], v[80:81]
	v_add_f64 v[48:49], v[30:31], v[20:21]
	v_fma_f64 v[38:39], v[88:89], -0.5, v[38:39]
	v_fma_f64 v[68:69], v[52:53], s[6:7], v[42:43]
	v_fma_f64 v[80:81], v[52:53], s[2:3], v[42:43]
	v_add_f64 v[42:43], v[58:59], v[18:19]
	v_add_f64 v[8:9], v[8:9], -v[14:15]
	v_add_f64 v[14:15], v[32:33], v[16:17]
	v_add_f64 v[88:89], v[44:45], v[26:27]
	;; [unrolled: 1-line block ×3, first 2 shown]
	v_fma_f64 v[30:31], v[48:49], -0.5, v[40:41]
	v_fma_f64 v[102:103], v[28:29], s[6:7], v[38:39]
	v_fma_f64 v[106:107], v[28:29], s[2:3], v[38:39]
	v_add_f64 v[28:29], v[36:37], v[58:59]
	v_fma_f64 v[36:37], v[42:43], -0.5, v[36:37]
	v_add_f64 v[10:11], v[10:11], -v[82:83]
	v_add_f64 v[70:71], v[60:61], v[70:71]
	v_add_f64 v[66:67], v[26:27], v[20:21]
	;; [unrolled: 1-line block ×3, first 2 shown]
	v_fma_f64 v[112:113], v[22:23], s[6:7], v[30:31]
	v_fma_f64 v[114:115], v[22:23], s[2:3], v[30:31]
	v_add_f64 v[22:23], v[16:17], v[2:3]
	v_add_f64 v[116:117], v[28:29], v[18:19]
	v_add_f64 v[18:19], v[62:63], v[64:65]
	v_add_f64 v[12:13], v[34:35], v[12:13]
	v_add_f64 v[78:79], v[100:101], v[78:79]
	v_fma_f64 v[20:21], v[20:21], -0.5, v[34:35]
	v_add_u32_e32 v100, 0x1000, v159
	v_add_u32_e32 v101, 0x1800, v159
	v_fma_f64 v[16:17], v[22:23], -0.5, v[32:33]
	v_add_f64 v[22:23], v[86:87], -v[54:55]
	v_fma_f64 v[18:19], v[18:19], -0.5, v[46:47]
	v_add_u32_e32 v60, 0x2400, v159
	v_add_u32_e32 v104, 0x800, v159
	;; [unrolled: 1-line block ×7, first 2 shown]
	v_add_f64 v[74:75], v[50:51], v[74:75]
	v_fma_f64 v[118:119], v[24:25], s[6:7], v[36:37]
	v_fma_f64 v[82:83], v[24:25], s[2:3], v[36:37]
	v_add_f64 v[86:87], v[12:13], v[4:5]
	v_fma_f64 v[120:121], v[8:9], s[6:7], v[20:21]
	v_fma_f64 v[122:123], v[8:9], s[2:3], v[20:21]
	;; [unrolled: 3-line block ×3, first 2 shown]
	v_fma_f64 v[14:15], v[22:23], s[6:7], v[18:19]
	v_fma_f64 v[8:9], v[22:23], s[2:3], v[18:19]
	s_waitcnt lgkmcnt(0)
	; wave barrier
	s_waitcnt lgkmcnt(0)
	ds_read_b64 v[54:55], v159
	ds_read2_b64 v[40:43], v100 offset0:118 offset1:181
	ds_read2_b64 v[2:5], v101 offset0:114 offset1:177
	;; [unrolled: 1-line block ×5, first 2 shown]
	ds_read_b64 v[50:51], v161
	ds_read2_b64 v[24:27], v105 offset0:116 offset1:179
	ds_read2_b64 v[20:23], v108 offset0:106 offset1:169
	ds_read_b64 v[48:49], v162
	ds_read2_b64 v[16:19], v165 offset0:120 offset1:183
	ds_read2_b64 v[10:13], v109 offset0:110 offset1:173
	ds_read_b64 v[58:59], v164
	ds_read_b64 v[44:45], v163
	ds_read_b64 v[52:53], v160
	ds_read_b64 v[56:57], v159 offset:12096
	s_waitcnt lgkmcnt(0)
	; wave barrier
	s_waitcnt lgkmcnt(0)
	ds_write2_b64 v72, v[70:71], v[90:91] offset1:3
	ds_write_b64 v72, v[92:93] offset:48
	ds_write2_b64 v73, v[78:79], v[94:95] offset1:3
	ds_write_b64 v73, v[98:99] offset:48
	;; [unrolled: 2-line block ×8, first 2 shown]
	s_and_saveexec_b64 s[2:3], s[0:1]
	s_cbranch_execz .LBB0_27
; %bb.26:
	v_add_f64 v[46:47], v[46:47], v[62:63]
	v_lshlrev_b32_e32 v62, 3, v96
	v_add3_u32 v62, 0, v97, v62
	v_add_f64 v[46:47], v[46:47], v[64:65]
	ds_write2_b64 v62, v[46:47], v[14:15] offset1:3
	ds_write_b64 v62, v[8:9] offset:48
.LBB0_27:
	s_or_b64 exec, exec, s[2:3]
	v_mov_b32_e32 v62, 57
	v_mul_lo_u16_sdwa v46, v154, v62 dst_sel:DWORD dst_unused:UNUSED_PAD src0_sel:BYTE_0 src1_sel:DWORD
	v_lshrrev_b16_e32 v46, 9, v46
	v_mul_lo_u16_e32 v47, 9, v46
	v_sub_u16_e32 v47, v154, v47
	v_mov_b32_e32 v63, 6
	v_lshlrev_b32_sdwa v64, v63, v47 dst_sel:DWORD dst_unused:UNUSED_PAD src0_sel:DWORD src1_sel:BYTE_0
	s_waitcnt lgkmcnt(0)
	; wave barrier
	s_waitcnt lgkmcnt(0)
	global_load_dwordx4 v[66:69], v64, s[12:13] offset:112
	global_load_dwordx4 v[74:77], v64, s[12:13] offset:96
	global_load_dwordx4 v[78:81], v64, s[12:13] offset:144
	global_load_dwordx4 v[82:85], v64, s[12:13] offset:128
	v_mul_lo_u16_sdwa v64, v155, v62 dst_sel:DWORD dst_unused:UNUSED_PAD src0_sel:BYTE_0 src1_sel:DWORD
	v_lshrrev_b16_e32 v166, 9, v64
	v_mul_lo_u16_e32 v64, 9, v166
	v_sub_u16_e32 v167, v155, v64
	v_lshlrev_b32_sdwa v64, v63, v167 dst_sel:DWORD dst_unused:UNUSED_PAD src0_sel:DWORD src1_sel:BYTE_0
	global_load_dwordx4 v[86:89], v64, s[12:13] offset:96
	global_load_dwordx4 v[90:93], v64, s[12:13] offset:112
	global_load_dwordx4 v[94:97], v64, s[12:13] offset:128
	global_load_dwordx4 v[116:119], v64, s[12:13] offset:144
	v_mul_lo_u16_sdwa v64, v156, v62 dst_sel:DWORD dst_unused:UNUSED_PAD src0_sel:BYTE_0 src1_sel:DWORD
	v_lshrrev_b16_e32 v168, 9, v64
	v_mul_lo_u16_e32 v64, 9, v168
	v_sub_u16_e32 v169, v156, v64
	v_lshlrev_b32_sdwa v64, v63, v169 dst_sel:DWORD dst_unused:UNUSED_PAD src0_sel:DWORD src1_sel:BYTE_0
	;; [unrolled: 9-line block ×3, first 2 shown]
	global_load_dwordx4 v[182:185], v62, s[12:13] offset:96
	global_load_dwordx4 v[186:189], v62, s[12:13] offset:112
	;; [unrolled: 1-line block ×4, first 2 shown]
	s_mov_b32 s0, 0xe38f
	v_mul_u32_u24_sdwa v62, v158, s0 dst_sel:DWORD dst_unused:UNUSED_PAD src0_sel:WORD_0 src1_sel:DWORD
	v_lshrrev_b32_e32 v252, 19, v62
	v_mul_lo_u16_e32 v62, 9, v252
	v_sub_u16_e32 v253, v158, v62
	v_lshlrev_b32_e32 v62, 6, v253
	ds_read_b64 v[72:73], v159
	global_load_dwordx4 v[198:201], v62, s[12:13] offset:112
	global_load_dwordx4 v[202:205], v62, s[12:13] offset:96
	ds_read2_b64 v[110:113], v100 offset0:118 offset1:181
	ds_read2_b64 v[206:209], v101 offset0:114 offset1:177
	;; [unrolled: 1-line block ×5, first 2 shown]
	ds_read_b64 v[64:65], v161
	ds_read2_b64 v[222:225], v105 offset0:116 offset1:179
	global_load_dwordx4 v[226:229], v62, s[12:13] offset:144
	global_load_dwordx4 v[230:233], v62, s[12:13] offset:128
	ds_read2_b64 v[234:237], v108 offset0:106 offset1:169
	ds_read_b64 v[62:63], v162
	ds_read2_b64 v[238:241], v165 offset0:120 offset1:183
	ds_read_b64 v[70:71], v164
	;; [unrolled: 2-line block ×3, first 2 shown]
	ds_read_b64 v[106:107], v160
	ds_read_b64 v[246:247], v159 offset:12096
	s_mov_b32 s2, 0x134454ff
	s_mov_b32 s3, 0xbfee6f0e
	;; [unrolled: 1-line block ×10, first 2 shown]
	s_waitcnt lgkmcnt(0)
	; wave barrier
	s_waitcnt lgkmcnt(0)
	v_cmp_gt_u32_e64 s[0:1], 36, v154
	s_waitcnt vmcnt(19)
	v_mul_f64 v[102:103], v[110:111], v[68:69]
	s_waitcnt vmcnt(18)
	v_mul_f64 v[98:99], v[70:71], v[76:77]
	s_waitcnt vmcnt(17)
	v_mul_f64 v[124:125], v[210:211], v[80:81]
	s_waitcnt vmcnt(16)
	v_mul_f64 v[114:115], v[208:209], v[84:85]
	v_mul_f64 v[84:85], v[4:5], v[84:85]
	v_mul_f64 v[76:77], v[58:59], v[76:77]
	s_waitcnt vmcnt(15)
	v_mul_f64 v[126:127], v[214:215], v[88:89]
	v_mul_f64 v[88:89], v[32:33], v[88:89]
	s_waitcnt vmcnt(14)
	v_mul_f64 v[130:131], v[112:113], v[92:93]
	s_waitcnt vmcnt(13)
	;; [unrolled: 2-line block ×3, first 2 shown]
	v_mul_f64 v[248:249], v[212:213], v[118:119]
	v_mul_f64 v[118:119], v[38:39], v[118:119]
	v_fma_f64 v[148:149], v[4:5], v[82:83], v[114:115]
	s_waitcnt vmcnt(11)
	v_mul_f64 v[4:5], v[216:217], v[122:123]
	v_fma_f64 v[136:137], v[32:33], v[86:87], v[126:127]
	s_waitcnt vmcnt(10)
	v_mul_f64 v[32:33], v[222:223], v[172:173]
	v_mul_f64 v[80:81], v[36:37], v[80:81]
	v_mul_f64 v[92:93], v[42:43], v[92:93]
	v_mul_f64 v[96:97], v[28:29], v[96:97]
	v_fma_f64 v[150:151], v[58:59], v[74:75], v[98:99]
	v_fma_f64 v[152:153], v[36:37], v[78:79], v[124:125]
	;; [unrolled: 1-line block ×5, first 2 shown]
	v_fma_f64 v[116:117], v[212:213], v[116:117], -v[118:119]
	v_mul_f64 v[28:29], v[34:35], v[122:123]
	v_mul_f64 v[36:37], v[24:25], v[172:173]
	v_fma_f64 v[118:119], v[34:35], v[120:121], v[4:5]
	s_waitcnt vmcnt(8)
	v_mul_f64 v[4:5], v[234:235], v[180:181]
	v_fma_f64 v[98:99], v[24:25], v[170:171], v[32:33]
	s_waitcnt vmcnt(7)
	v_mul_f64 v[24:25], v[238:239], v[184:185]
	v_mul_f64 v[68:69], v[40:41], v[68:69]
	v_fma_f64 v[138:139], v[70:71], v[74:75], -v[76:77]
	v_fma_f64 v[146:147], v[40:41], v[66:67], v[102:103]
	v_fma_f64 v[112:113], v[112:113], v[90:91], -v[92:93]
	v_mul_f64 v[34:35], v[20:21], v[180:181]
	v_fma_f64 v[74:75], v[216:217], v[120:121], -v[28:29]
	v_fma_f64 v[124:125], v[20:21], v[178:179], v[4:5]
	v_mul_f64 v[4:5], v[16:17], v[184:185]
	s_waitcnt vmcnt(6)
	v_mul_f64 v[20:21], v[224:225], v[188:189]
	v_mul_f64 v[28:29], v[26:27], v[188:189]
	v_fma_f64 v[92:93], v[16:17], v[182:183], v[24:25]
	s_waitcnt vmcnt(4)
	v_mul_f64 v[24:25], v[236:237], v[196:197]
	v_fma_f64 v[134:135], v[110:111], v[66:67], -v[68:69]
	v_fma_f64 v[132:133], v[208:209], v[82:83], -v[84:85]
	;; [unrolled: 1-line block ×4, first 2 shown]
	v_mul_f64 v[38:39], v[220:221], v[176:177]
	v_fma_f64 v[84:85], v[234:235], v[178:179], -v[34:35]
	v_mul_f64 v[34:35], v[22:23], v[196:197]
	v_fma_f64 v[16:17], v[238:239], v[182:183], -v[4:5]
	v_fma_f64 v[88:89], v[26:27], v[186:187], v[20:21]
	v_fma_f64 v[66:67], v[224:225], v[186:187], -v[28:29]
	s_waitcnt vmcnt(2)
	v_mul_f64 v[4:5], v[240:241], v[204:205]
	v_fma_f64 v[120:121], v[22:23], v[194:195], v[24:25]
	v_mul_f64 v[20:21], v[18:19], v[204:205]
	v_mul_f64 v[22:23], v[206:207], v[200:201]
	v_add_f64 v[28:29], v[146:147], v[148:149]
	v_mul_f64 v[40:41], v[30:31], v[176:177]
	v_fma_f64 v[102:103], v[30:31], v[174:175], v[38:39]
	v_mul_f64 v[30:31], v[242:243], v[192:193]
	v_mul_f64 v[26:27], v[2:3], v[200:201]
	v_fma_f64 v[80:81], v[18:19], v[202:203], v[4:5]
	s_waitcnt vmcnt(0)
	v_mul_f64 v[4:5], v[244:245], v[232:233]
	v_fma_f64 v[18:19], v[240:241], v[202:203], -v[20:21]
	v_fma_f64 v[82:83], v[2:3], v[198:199], v[22:23]
	v_fma_f64 v[20:21], v[28:29], -0.5, v[54:55]
	v_add_f64 v[22:23], v[138:139], -v[128:129]
	v_mul_f64 v[32:33], v[10:11], v[192:193]
	v_fma_f64 v[90:91], v[10:11], v[190:191], v[30:31]
	v_fma_f64 v[68:69], v[236:237], v[194:195], -v[34:35]
	v_add_f64 v[24:25], v[54:55], v[150:151]
	v_mul_f64 v[30:31], v[12:13], v[232:233]
	v_fma_f64 v[70:71], v[206:207], v[198:199], -v[26:27]
	v_fma_f64 v[86:87], v[12:13], v[230:231], v[4:5]
	v_mul_f64 v[4:5], v[246:247], v[228:229]
	v_fma_f64 v[26:27], v[22:23], s[2:3], v[20:21]
	v_add_f64 v[28:29], v[134:135], -v[132:133]
	v_add_f64 v[34:35], v[150:151], v[152:153]
	v_fma_f64 v[10:11], v[242:243], v[190:191], -v[32:33]
	v_add_f64 v[2:3], v[24:25], v[146:147]
	v_fma_f64 v[12:13], v[244:245], v[230:231], -v[30:31]
	v_mul_f64 v[24:25], v[56:57], v[228:229]
	v_add_f64 v[30:31], v[150:151], -v[146:147]
	v_add_f64 v[32:33], v[152:153], -v[148:149]
	v_fma_f64 v[122:123], v[56:57], v[226:227], v[4:5]
	v_fma_f64 v[4:5], v[28:29], s[8:9], v[26:27]
	v_fma_f64 v[26:27], v[34:35], -0.5, v[54:55]
	v_fma_f64 v[114:115], v[218:219], v[94:95], -v[96:97]
	v_fma_f64 v[76:77], v[222:223], v[170:171], -v[36:37]
	;; [unrolled: 1-line block ×3, first 2 shown]
	v_fma_f64 v[20:21], v[22:23], s[14:15], v[20:21]
	v_add_f64 v[24:25], v[30:31], v[32:33]
	v_add_f64 v[32:33], v[126:127], v[130:131]
	v_add_f64 v[36:37], v[146:147], -v[150:151]
	v_fma_f64 v[34:35], v[28:29], s[14:15], v[26:27]
	v_add_f64 v[38:39], v[148:149], -v[152:153]
	v_fma_f64 v[26:27], v[28:29], s[2:3], v[26:27]
	v_fma_f64 v[78:79], v[220:221], v[174:175], -v[40:41]
	v_fma_f64 v[20:21], v[28:29], s[16:17], v[20:21]
	v_add_f64 v[40:41], v[144:145], -v[130:131]
	v_fma_f64 v[28:29], v[32:33], -0.5, v[52:53]
	v_add_f64 v[32:33], v[110:111], -v[116:117]
	v_fma_f64 v[34:35], v[22:23], s[8:9], v[34:35]
	v_add_f64 v[36:37], v[36:37], v[38:39]
	v_fma_f64 v[22:23], v[22:23], s[16:17], v[26:27]
	v_add_f64 v[26:27], v[136:137], v[144:145]
	v_fma_f64 v[38:39], v[24:25], s[6:7], v[4:5]
	v_fma_f64 v[20:21], v[24:25], s[6:7], v[20:21]
	v_add_f64 v[24:25], v[112:113], -v[114:115]
	v_fma_f64 v[4:5], v[32:33], s[2:3], v[28:29]
	v_fma_f64 v[28:29], v[32:33], s[14:15], v[28:29]
	;; [unrolled: 1-line block ×4, first 2 shown]
	v_fma_f64 v[26:27], v[26:27], -0.5, v[52:53]
	v_add_f64 v[36:37], v[136:137], -v[126:127]
	v_add_f64 v[42:43], v[50:51], v[118:119]
	v_add_f64 v[30:31], v[52:53], v[136:137]
	v_fma_f64 v[4:5], v[24:25], s[8:9], v[4:5]
	v_add_f64 v[52:53], v[98:99], v[102:103]
	v_add_f64 v[56:57], v[126:127], -v[136:137]
	v_add_f64 v[58:59], v[130:131], -v[144:145]
	v_fma_f64 v[54:55], v[24:25], s[14:15], v[26:27]
	v_add_f64 v[36:37], v[36:37], v[40:41]
	v_fma_f64 v[28:29], v[24:25], s[16:17], v[28:29]
	v_fma_f64 v[24:25], v[24:25], s[2:3], v[26:27]
	v_add_f64 v[26:27], v[42:43], v[98:99]
	v_fma_f64 v[40:41], v[52:53], -0.5, v[50:51]
	v_add_f64 v[42:43], v[74:75], -v[84:85]
	v_add_f64 v[96:97], v[118:119], -v[98:99]
	v_fma_f64 v[52:53], v[32:33], s[8:9], v[54:55]
	v_add_f64 v[54:55], v[56:57], v[58:59]
	v_fma_f64 v[56:57], v[36:37], s[6:7], v[4:5]
	v_fma_f64 v[4:5], v[32:33], s[16:17], v[24:25]
	v_add_f64 v[24:25], v[26:27], v[102:103]
	v_add_f64 v[26:27], v[118:119], v[124:125]
	v_fma_f64 v[28:29], v[36:37], s[6:7], v[28:29]
	v_fma_f64 v[32:33], v[42:43], s[2:3], v[40:41]
	v_add_f64 v[36:37], v[76:77], -v[78:79]
	v_fma_f64 v[52:53], v[54:55], s[6:7], v[52:53]
	v_add_f64 v[58:59], v[88:89], v[90:91]
	v_add_f64 v[170:171], v[124:125], -v[102:103]
	v_fma_f64 v[54:55], v[54:55], s[6:7], v[4:5]
	v_fma_f64 v[4:5], v[26:27], -0.5, v[50:51]
	v_add_f64 v[50:51], v[24:25], v[124:125]
	v_add_f64 v[26:27], v[48:49], v[92:93]
	v_fma_f64 v[24:25], v[36:37], s[8:9], v[32:33]
	v_fma_f64 v[40:41], v[42:43], s[14:15], v[40:41]
	v_fma_f64 v[32:33], v[58:59], -0.5, v[48:49]
	v_add_f64 v[58:59], v[16:17], -v[68:69]
	v_add_f64 v[96:97], v[96:97], v[170:171]
	v_fma_f64 v[170:171], v[36:37], s[14:15], v[4:5]
	v_add_f64 v[172:173], v[98:99], -v[118:119]
	v_add_f64 v[174:175], v[102:103], -v[124:125]
	v_fma_f64 v[4:5], v[36:37], s[2:3], v[4:5]
	v_add_f64 v[26:27], v[26:27], v[88:89]
	v_add_f64 v[178:179], v[66:67], -v[10:11]
	v_fma_f64 v[176:177], v[58:59], s[2:3], v[32:33]
	v_add_f64 v[180:181], v[92:93], -v[88:89]
	v_add_f64 v[182:183], v[120:121], -v[90:91]
	v_fma_f64 v[36:37], v[36:37], s[16:17], v[40:41]
	v_add_f64 v[40:41], v[92:93], v[120:121]
	v_add_f64 v[172:173], v[172:173], v[174:175]
	v_fma_f64 v[4:5], v[42:43], s[16:17], v[4:5]
	v_fma_f64 v[170:171], v[42:43], s[8:9], v[170:171]
	v_add_f64 v[26:27], v[26:27], v[90:91]
	v_fma_f64 v[42:43], v[178:179], s[8:9], v[176:177]
	v_add_f64 v[174:175], v[180:181], v[182:183]
	v_fma_f64 v[176:177], v[96:97], s[6:7], v[24:25]
	v_fma_f64 v[24:25], v[40:41], -0.5, v[48:49]
	v_add_f64 v[180:181], v[80:81], v[122:123]
	v_fma_f64 v[48:49], v[172:173], s[6:7], v[4:5]
	v_add_f64 v[4:5], v[82:83], v[86:87]
	v_fma_f64 v[36:37], v[96:97], s[6:7], v[36:37]
	v_fma_f64 v[40:41], v[172:173], s[6:7], v[170:171]
	v_add_f64 v[171:172], v[26:27], v[120:121]
	v_fma_f64 v[26:27], v[58:59], s[14:15], v[32:33]
	v_add_f64 v[96:97], v[88:89], -v[92:93]
	v_add_f64 v[182:183], v[90:91], -v[120:121]
	v_add_f64 v[184:185], v[44:45], v[80:81]
	v_fma_f64 v[4:5], v[4:5], -0.5, v[44:45]
	v_add_f64 v[186:187], v[18:19], -v[94:95]
	v_add_f64 v[188:189], v[70:71], -v[12:13]
	v_fma_f64 v[44:45], v[180:181], -0.5, v[44:45]
	v_add_f64 v[30:31], v[30:31], v[126:127]
	v_fma_f64 v[32:33], v[178:179], s[14:15], v[24:25]
	v_fma_f64 v[26:27], v[178:179], s[16:17], v[26:27]
	v_add_f64 v[96:97], v[96:97], v[182:183]
	v_fma_f64 v[24:25], v[178:179], s[2:3], v[24:25]
	v_add_f64 v[178:179], v[184:185], v[82:83]
	v_fma_f64 v[180:181], v[186:187], s[2:3], v[4:5]
	v_add_f64 v[182:183], v[80:81], -v[82:83]
	v_add_f64 v[184:185], v[122:123], -v[86:87]
	v_fma_f64 v[190:191], v[188:189], s[14:15], v[44:45]
	v_add_f64 v[192:193], v[82:83], -v[80:81]
	v_add_f64 v[194:195], v[86:87], -v[122:123]
	v_fma_f64 v[44:45], v[188:189], s[2:3], v[44:45]
	v_fma_f64 v[4:5], v[186:187], s[14:15], v[4:5]
	v_add_f64 v[2:3], v[2:3], v[148:149]
	v_add_f64 v[30:31], v[30:31], v[130:131]
	v_fma_f64 v[32:33], v[58:59], s[8:9], v[32:33]
	v_fma_f64 v[24:25], v[58:59], s[16:17], v[24:25]
	v_add_f64 v[58:59], v[178:179], v[86:87]
	v_fma_f64 v[178:179], v[188:189], s[8:9], v[180:181]
	v_add_f64 v[180:181], v[182:183], v[184:185]
	v_add_f64 v[184:185], v[192:193], v[194:195]
	v_fma_f64 v[44:45], v[186:187], s[16:17], v[44:45]
	v_fma_f64 v[182:183], v[186:187], s[8:9], v[190:191]
	;; [unrolled: 1-line block ×3, first 2 shown]
	v_add_f64 v[2:3], v[2:3], v[152:153]
	v_add_f64 v[30:31], v[30:31], v[144:145]
	v_fma_f64 v[42:43], v[174:175], s[6:7], v[42:43]
	v_fma_f64 v[173:174], v[174:175], s[6:7], v[26:27]
	v_fma_f64 v[32:33], v[96:97], s[6:7], v[32:33]
	v_fma_f64 v[186:187], v[96:97], s[6:7], v[24:25]
	v_add_f64 v[58:59], v[58:59], v[122:123]
	v_fma_f64 v[96:97], v[180:181], s[6:7], v[178:179]
	v_fma_f64 v[26:27], v[184:185], s[6:7], v[44:45]
	v_mov_b32_e32 v45, 3
	v_fma_f64 v[24:25], v[184:185], s[6:7], v[182:183]
	v_mul_u32_u24_e32 v44, 0x168, v46
	v_lshlrev_b32_sdwa v46, v45, v47 dst_sel:DWORD dst_unused:UNUSED_PAD src0_sel:DWORD src1_sel:BYTE_0
	v_fma_f64 v[4:5], v[180:181], s[6:7], v[4:5]
	v_add3_u32 v170, 0, v44, v46
	ds_write2_b64 v170, v[2:3], v[38:39] offset1:9
	ds_write2_b64 v170, v[34:35], v[22:23] offset0:18 offset1:27
	ds_write_b64 v170, v[20:21] offset:288
	v_mul_u32_u24_e32 v2, 0x168, v166
	v_lshlrev_b32_sdwa v3, v45, v167 dst_sel:DWORD dst_unused:UNUSED_PAD src0_sel:DWORD src1_sel:BYTE_0
	v_add3_u32 v166, 0, v2, v3
	v_mul_u32_u24_e32 v2, 0x168, v168
	v_lshlrev_b32_sdwa v3, v45, v169 dst_sel:DWORD dst_unused:UNUSED_PAD src0_sel:DWORD src1_sel:BYTE_0
	v_add3_u32 v167, 0, v2, v3
	v_mul_u32_u24_e32 v2, 0x168, v250
	v_lshlrev_b32_sdwa v3, v45, v251 dst_sel:DWORD dst_unused:UNUSED_PAD src0_sel:DWORD src1_sel:BYTE_0
	v_add3_u32 v168, 0, v2, v3
	v_mul_u32_u24_e32 v2, 0x168, v252
	v_lshlrev_b32_e32 v3, 3, v253
	v_add3_u32 v169, 0, v2, v3
	ds_write2_b64 v166, v[30:31], v[56:57] offset1:9
	ds_write2_b64 v166, v[52:53], v[54:55] offset0:18 offset1:27
	ds_write_b64 v166, v[28:29] offset:288
	ds_write2_b64 v167, v[50:51], v[176:177] offset1:9
	ds_write2_b64 v167, v[40:41], v[48:49] offset0:18 offset1:27
	ds_write_b64 v167, v[36:37] offset:288
	;; [unrolled: 3-line block ×4, first 2 shown]
	s_waitcnt lgkmcnt(0)
	; wave barrier
	s_waitcnt lgkmcnt(0)
	ds_read2_b64 v[20:23], v159 offset1:225
	ds_read2_b64 v[56:59], v165 offset0:66 offset1:129
	ds_read2_b64 v[36:39], v100 offset0:64 offset1:163
	;; [unrolled: 1-line block ×8, first 2 shown]
	ds_read_b64 v[100:101], v161
	ds_read_b64 v[104:105], v160
	ds_read_b64 v[108:109], v159 offset:11808
	s_and_saveexec_b64 s[18:19], s[0:1]
	s_cbranch_execz .LBB0_29
; %bb.28:
	v_add_u32_e32 v0, 0xc00, v159
	ds_read2_b64 v[24:27], v0 offset0:30 offset1:255
	v_add_u32_e32 v0, 0x1b00, v159
	ds_read2_b64 v[4:7], v0 offset1:225
	v_add_u32_e32 v0, 0x2900, v159
	ds_read_b64 v[96:97], v162
	ds_read2_b64 v[0:3], v0 offset0:2 offset1:227
.LBB0_29:
	s_or_b64 exec, exec, s[18:19]
	v_add_f64 v[171:172], v[134:135], v[132:133]
	v_add_f64 v[150:151], v[150:151], -v[152:153]
	v_add_f64 v[152:153], v[138:139], v[128:129]
	v_add_f64 v[173:174], v[72:73], v[138:139]
	v_add_f64 v[146:147], v[146:147], -v[148:149]
	v_add_f64 v[148:149], v[138:139], -v[134:135]
	;; [unrolled: 1-line block ×3, first 2 shown]
	v_add_f64 v[179:180], v[106:107], v[110:111]
	v_fma_f64 v[171:172], v[171:172], -0.5, v[72:73]
	v_add_f64 v[138:139], v[134:135], -v[138:139]
	v_fma_f64 v[72:73], v[152:153], -0.5, v[72:73]
	v_add_f64 v[177:178], v[132:133], -v[128:129]
	v_add_f64 v[152:153], v[112:113], v[114:115]
	v_add_f64 v[136:137], v[136:137], -v[144:145]
	v_add_f64 v[134:135], v[173:174], v[134:135]
	v_add_f64 v[148:149], v[148:149], v[175:176]
	v_fma_f64 v[144:145], v[150:151], s[14:15], v[171:172]
	v_fma_f64 v[171:172], v[150:151], s[2:3], v[171:172]
	;; [unrolled: 1-line block ×4, first 2 shown]
	v_add_f64 v[179:180], v[179:180], v[112:113]
	v_add_f64 v[173:174], v[110:111], v[116:117]
	;; [unrolled: 1-line block ×4, first 2 shown]
	v_fma_f64 v[134:135], v[146:147], s[16:17], v[144:145]
	v_fma_f64 v[144:145], v[146:147], s[8:9], v[171:172]
	v_fma_f64 v[146:147], v[152:153], -0.5, v[106:107]
	v_fma_f64 v[152:153], v[150:151], s[16:17], v[175:176]
	v_fma_f64 v[72:73], v[150:151], s[8:9], v[72:73]
	v_add_f64 v[150:151], v[179:180], v[114:115]
	v_add_f64 v[128:129], v[132:133], v[128:129]
	v_add_f64 v[126:127], v[126:127], -v[130:131]
	v_fma_f64 v[132:133], v[148:149], s[6:7], v[134:135]
	v_fma_f64 v[134:135], v[148:149], s[6:7], v[144:145]
	;; [unrolled: 1-line block ×5, first 2 shown]
	v_fma_f64 v[106:107], v[173:174], -0.5, v[106:107]
	v_add_f64 v[138:139], v[150:151], v[116:117]
	v_add_f64 v[148:149], v[110:111], -v[112:113]
	v_add_f64 v[150:151], v[116:117], -v[114:115]
	v_fma_f64 v[146:147], v[136:137], s[2:3], v[146:147]
	v_add_f64 v[152:153], v[64:65], v[74:75]
	v_fma_f64 v[144:145], v[126:127], s[16:17], v[144:145]
	v_add_f64 v[110:111], v[112:113], -v[110:111]
	v_fma_f64 v[173:174], v[126:127], s[2:3], v[106:107]
	v_add_f64 v[112:113], v[114:115], -v[116:117]
	v_fma_f64 v[106:107], v[126:127], s[14:15], v[106:107]
	v_add_f64 v[114:115], v[148:149], v[150:151]
	v_fma_f64 v[116:117], v[126:127], s[8:9], v[146:147]
	v_add_f64 v[126:127], v[152:153], v[76:77]
	v_add_f64 v[171:172], v[76:77], v[78:79]
	v_add_f64 v[118:119], v[118:119], -v[124:125]
	v_fma_f64 v[124:125], v[136:137], s[16:17], v[173:174]
	v_add_f64 v[110:111], v[110:111], v[112:113]
	v_add_f64 v[98:99], v[98:99], -v[102:103]
	v_fma_f64 v[112:113], v[114:115], s[6:7], v[144:145]
	v_fma_f64 v[114:115], v[114:115], s[6:7], v[116:117]
	v_add_f64 v[116:117], v[126:127], v[78:79]
	v_add_f64 v[126:127], v[74:75], v[84:85]
	v_fma_f64 v[146:147], v[171:172], -0.5, v[64:65]
	v_add_f64 v[144:145], v[74:75], -v[76:77]
	v_add_f64 v[148:149], v[84:85], -v[78:79]
	v_fma_f64 v[106:107], v[136:137], s[8:9], v[106:107]
	v_fma_f64 v[102:103], v[110:111], s[6:7], v[124:125]
	v_add_f64 v[124:125], v[66:67], v[10:11]
	v_add_f64 v[92:93], v[92:93], -v[120:121]
	v_fma_f64 v[64:65], v[126:127], -0.5, v[64:65]
	v_add_f64 v[126:127], v[62:63], v[16:17]
	v_fma_f64 v[136:137], v[118:119], s[14:15], v[146:147]
	v_add_f64 v[120:121], v[144:145], v[148:149]
	v_add_f64 v[74:75], v[76:77], -v[74:75]
	v_add_f64 v[76:77], v[78:79], -v[84:85]
	v_fma_f64 v[106:107], v[110:111], s[6:7], v[106:107]
	v_add_f64 v[110:111], v[116:117], v[84:85]
	v_fma_f64 v[144:145], v[98:99], s[2:3], v[64:65]
	v_fma_f64 v[64:65], v[98:99], s[14:15], v[64:65]
	v_add_f64 v[78:79], v[126:127], v[66:67]
	v_fma_f64 v[116:117], v[98:99], s[16:17], v[136:137]
	v_fma_f64 v[136:137], v[118:119], s[2:3], v[146:147]
	v_fma_f64 v[124:125], v[124:125], -0.5, v[62:63]
	v_add_f64 v[74:75], v[74:75], v[76:77]
	v_add_f64 v[88:89], v[88:89], -v[90:91]
	v_fma_f64 v[144:145], v[118:119], s[16:17], v[144:145]
	v_fma_f64 v[64:65], v[118:119], s[8:9], v[64:65]
	v_add_f64 v[76:77], v[78:79], v[10:11]
	v_add_f64 v[90:91], v[16:17], -v[66:67]
	v_fma_f64 v[98:99], v[98:99], s[8:9], v[136:137]
	v_add_f64 v[136:137], v[16:17], v[68:69]
	v_fma_f64 v[84:85], v[92:93], s[14:15], v[124:125]
	v_add_f64 v[126:127], v[68:69], -v[10:11]
	v_fma_f64 v[118:119], v[74:75], s[6:7], v[144:145]
	v_fma_f64 v[64:65], v[74:75], s[6:7], v[64:65]
	v_add_f64 v[74:75], v[76:77], v[68:69]
	v_add_f64 v[76:77], v[70:71], v[12:13]
	v_add_f64 v[16:17], v[66:67], -v[16:17]
	v_add_f64 v[66:67], v[18:19], v[94:95]
	v_fma_f64 v[62:63], v[136:137], -0.5, v[62:63]
	v_add_f64 v[10:11], v[10:11], -v[68:69]
	v_fma_f64 v[78:79], v[88:89], s[16:17], v[84:85]
	v_add_f64 v[84:85], v[90:91], v[126:127]
	v_fma_f64 v[90:91], v[120:121], s[6:7], v[116:117]
	v_fma_f64 v[116:117], v[120:121], s[6:7], v[98:99]
	;; [unrolled: 1-line block ×3, first 2 shown]
	v_add_f64 v[68:69], v[60:61], v[18:19]
	v_fma_f64 v[76:77], v[76:77], -0.5, v[60:61]
	v_add_f64 v[80:81], v[80:81], -v[122:123]
	v_add_f64 v[82:83], v[82:83], -v[86:87]
	v_fma_f64 v[60:61], v[66:67], -0.5, v[60:61]
	v_fma_f64 v[120:121], v[88:89], s[2:3], v[62:63]
	v_add_f64 v[10:11], v[16:17], v[10:11]
	v_fma_f64 v[16:17], v[88:89], s[14:15], v[62:63]
	v_fma_f64 v[98:99], v[88:89], s[8:9], v[98:99]
	v_add_f64 v[62:63], v[68:69], v[70:71]
	v_fma_f64 v[66:67], v[80:81], s[14:15], v[76:77]
	v_add_f64 v[68:69], v[18:19], -v[70:71]
	v_add_f64 v[86:87], v[94:95], -v[12:13]
	v_fma_f64 v[76:77], v[80:81], s[2:3], v[76:77]
	v_fma_f64 v[88:89], v[82:83], s[2:3], v[60:61]
	v_add_f64 v[18:19], v[70:71], -v[18:19]
	v_add_f64 v[70:71], v[12:13], -v[94:95]
	v_fma_f64 v[60:61], v[82:83], s[14:15], v[60:61]
	v_fma_f64 v[120:121], v[92:93], s[16:17], v[120:121]
	;; [unrolled: 1-line block ×3, first 2 shown]
	v_add_f64 v[12:13], v[62:63], v[12:13]
	v_fma_f64 v[62:63], v[82:83], s[16:17], v[66:67]
	v_add_f64 v[66:67], v[68:69], v[86:87]
	v_fma_f64 v[68:69], v[82:83], s[8:9], v[76:77]
	v_fma_f64 v[76:77], v[80:81], s[16:17], v[88:89]
	v_add_f64 v[18:19], v[18:19], v[70:71]
	v_fma_f64 v[70:71], v[80:81], s[8:9], v[60:61]
	v_fma_f64 v[82:83], v[10:11], s[6:7], v[120:121]
	;; [unrolled: 1-line block ×5, first 2 shown]
	v_add_f64 v[16:17], v[12:13], v[94:95]
	v_fma_f64 v[98:99], v[66:67], s[6:7], v[62:63]
	v_fma_f64 v[12:13], v[66:67], s[6:7], v[68:69]
	;; [unrolled: 1-line block ×4, first 2 shown]
	s_waitcnt lgkmcnt(0)
	; wave barrier
	s_waitcnt lgkmcnt(0)
	ds_write2_b64 v170, v[128:129], v[132:133] offset1:9
	ds_write2_b64 v170, v[130:131], v[72:73] offset0:18 offset1:27
	ds_write_b64 v170, v[134:135] offset:288
	ds_write2_b64 v166, v[138:139], v[112:113] offset1:9
	ds_write2_b64 v166, v[102:103], v[106:107] offset0:18 offset1:27
	ds_write_b64 v166, v[114:115] offset:288
	ds_write2_b64 v167, v[110:111], v[90:91] offset1:9
	ds_write2_b64 v167, v[118:119], v[64:65] offset0:18 offset1:27
	ds_write_b64 v167, v[116:117] offset:288
	ds_write2_b64 v168, v[74:75], v[78:79] offset1:9
	ds_write2_b64 v168, v[82:83], v[10:11] offset0:18 offset1:27
	ds_write_b64 v168, v[80:81] offset:288
	ds_write2_b64 v169, v[16:17], v[98:99] offset1:9
	ds_write2_b64 v169, v[60:61], v[62:63] offset0:18 offset1:27
	ds_write_b64 v169, v[12:13] offset:288
	v_add_u32_e32 v11, 0x1000, v159
	v_add_u32_e32 v72, 0x2800, v159
	s_waitcnt lgkmcnt(0)
	; wave barrier
	s_waitcnt lgkmcnt(0)
	ds_read2_b64 v[68:71], v11 offset0:64 offset1:163
	v_add_u32_e32 v11, 0x1800, v159
	ds_read2_b64 v[84:87], v72 offset0:70 offset1:133
	v_add_u32_e32 v72, 0x800, v159
	v_add_u32_e32 v10, 0xc00, v159
	ds_read2_b64 v[88:91], v11 offset0:132 offset1:195
	v_add_u32_e32 v11, 0x2000, v159
	ds_read2_b64 v[80:83], v72 offset0:32 offset1:95
	v_add_u32_e32 v72, 0x1400, v159
	ds_read2_b64 v[16:19], v159 offset1:225
	ds_read2_b64 v[92:95], v10 offset0:66 offset1:129
	ds_read2_b64 v[64:67], v11 offset0:2 offset1:101
	;; [unrolled: 1-line block ×4, first 2 shown]
	ds_read_b64 v[102:103], v161
	ds_read_b64 v[106:107], v160
	ds_read_b64 v[110:111], v159 offset:11808
	s_and_saveexec_b64 s[2:3], s[0:1]
	s_cbranch_execz .LBB0_31
; %bb.30:
	v_add_u32_e32 v8, 0x1b00, v159
	ds_read_b64 v[98:99], v162
	ds_read2_b64 v[60:63], v10 offset0:30 offset1:255
	ds_read2_b64 v[12:15], v8 offset1:225
	v_add_u32_e32 v8, 0x2900, v159
	ds_read2_b64 v[8:11], v8 offset0:2 offset1:227
.LBB0_31:
	s_or_b64 exec, exec, s[2:3]
	v_subrev_u32_e32 v112, 45, v154
	v_cmp_gt_u32_e64 s[2:3], 45, v154
	v_cndmask_b32_e64 v146, v112, v154, s[2:3]
	v_mul_i32_i24_e32 v112, 6, v146
	v_mov_b32_e32 v113, 0
	v_lshlrev_b64 v[112:113], 4, v[112:113]
	v_mov_b32_e32 v114, s13
	v_add_co_u32_e64 v120, s[2:3], s12, v112
	v_addc_co_u32_e64 v121, s[2:3], v114, v113, s[2:3]
	s_movk_i32 s2, 0x6d
	global_load_dwordx4 v[112:115], v[120:121], off offset:720
	global_load_dwordx4 v[116:119], v[120:121], off offset:704
	global_load_dwordx4 v[122:125], v[120:121], off offset:688
	global_load_dwordx4 v[126:129], v[120:121], off offset:672
	global_load_dwordx4 v[165:168], v[120:121], off offset:752
	global_load_dwordx4 v[134:137], v[120:121], off offset:736
	v_mul_lo_u16_sdwa v120, v155, s2 dst_sel:DWORD dst_unused:UNUSED_PAD src0_sel:BYTE_0 src1_sel:DWORD
	v_sub_u16_sdwa v121, v155, v120 dst_sel:DWORD dst_unused:UNUSED_PAD src0_sel:DWORD src1_sel:BYTE_1
	v_lshrrev_b16_e32 v121, 1, v121
	v_and_b32_e32 v121, 0x7f, v121
	v_add_u16_sdwa v120, v121, v120 dst_sel:DWORD dst_unused:UNUSED_PAD src0_sel:DWORD src1_sel:BYTE_1
	v_lshrrev_b16_e32 v147, 5, v120
	v_mul_lo_u16_e32 v120, 45, v147
	v_sub_u16_e32 v148, v155, v120
	v_mov_b32_e32 v120, 6
	v_mul_u32_u24_sdwa v121, v148, v120 dst_sel:DWORD dst_unused:UNUSED_PAD src0_sel:BYTE_0 src1_sel:DWORD
	v_lshlrev_b32_e32 v121, 4, v121
	global_load_dwordx4 v[169:172], v121, s[12:13] offset:672
	global_load_dwordx4 v[173:176], v121, s[12:13] offset:688
	;; [unrolled: 1-line block ×4, first 2 shown]
	v_mul_lo_u16_sdwa v130, v156, s2 dst_sel:DWORD dst_unused:UNUSED_PAD src0_sel:BYTE_0 src1_sel:DWORD
	v_sub_u16_sdwa v131, v156, v130 dst_sel:DWORD dst_unused:UNUSED_PAD src0_sel:DWORD src1_sel:BYTE_1
	global_load_dwordx4 v[185:188], v121, s[12:13] offset:752
	global_load_dwordx4 v[189:192], v121, s[12:13] offset:736
	v_lshrrev_b16_e32 v131, 1, v131
	v_and_b32_e32 v131, 0x7f, v131
	v_add_u16_sdwa v130, v131, v130 dst_sel:DWORD dst_unused:UNUSED_PAD src0_sel:DWORD src1_sel:BYTE_1
	v_lshrrev_b16_e32 v149, 5, v130
	v_mul_lo_u16_e32 v121, 45, v149
	v_sub_u16_e32 v150, v156, v121
	v_mul_u32_u24_sdwa v120, v150, v120 dst_sel:DWORD dst_unused:UNUSED_PAD src0_sel:BYTE_0 src1_sel:DWORD
	v_lshlrev_b32_e32 v120, 4, v120
	global_load_dwordx4 v[193:196], v120, s[12:13] offset:672
	global_load_dwordx4 v[197:200], v120, s[12:13] offset:688
	;; [unrolled: 1-line block ×4, first 2 shown]
	v_mul_lo_u16_sdwa v121, v157, s2 dst_sel:DWORD dst_unused:UNUSED_PAD src0_sel:BYTE_0 src1_sel:DWORD
	global_load_dwordx4 v[209:212], v120, s[12:13] offset:752
	global_load_dwordx4 v[213:216], v120, s[12:13] offset:736
	v_sub_u16_sdwa v130, v157, v121 dst_sel:DWORD dst_unused:UNUSED_PAD src0_sel:DWORD src1_sel:BYTE_1
	v_lshrrev_b16_e32 v120, 1, v130
	v_and_b32_e32 v120, 0x7f, v120
	v_add_u16_sdwa v120, v120, v121 dst_sel:DWORD dst_unused:UNUSED_PAD src0_sel:DWORD src1_sel:BYTE_1
	v_lshrrev_b16_e32 v120, 5, v120
	v_mul_lo_u16_e32 v120, 45, v120
	v_sub_u16_e32 v120, v157, v120
	v_and_b32_e32 v153, 0xff, v120
	v_mul_u32_u24_e32 v120, 6, v153
	v_lshlrev_b32_e32 v120, 4, v120
	global_load_dwordx4 v[217:220], v120, s[12:13] offset:672
	global_load_dwordx4 v[221:224], v120, s[12:13] offset:688
	global_load_dwordx4 v[225:228], v120, s[12:13] offset:704
	global_load_dwordx4 v[229:232], v120, s[12:13] offset:720
	global_load_dwordx4 v[233:236], v120, s[12:13] offset:752
	global_load_dwordx4 v[237:240], v120, s[12:13] offset:736
	s_mov_b32 s8, 0x37e14327
	s_mov_b32 s6, 0x36b3c0b5
	;; [unrolled: 1-line block ×20, first 2 shown]
	v_cmp_lt_u32_e64 s[2:3], 44, v154
	s_waitcnt lgkmcnt(0)
	; wave barrier
	s_waitcnt vmcnt(23) lgkmcnt(0)
	v_mul_f64 v[151:152], v[88:89], v[114:115]
	s_waitcnt vmcnt(22)
	v_mul_f64 v[138:139], v[70:71], v[118:119]
	s_waitcnt vmcnt(21)
	;; [unrolled: 2-line block ×3, first 2 shown]
	v_mul_f64 v[120:121], v[18:19], v[128:129]
	v_mul_f64 v[128:129], v[22:23], v[128:129]
	v_mul_f64 v[132:133], v[56:57], v[124:125]
	v_mul_f64 v[144:145], v[38:39], v[118:119]
	s_waitcnt vmcnt(18)
	v_mul_f64 v[241:242], v[66:67], v[136:137]
	v_mul_f64 v[245:246], v[84:85], v[167:168]
	;; [unrolled: 1-line block ×5, first 2 shown]
	v_fma_f64 v[118:119], v[22:23], v[126:127], v[120:121]
	v_fma_f64 v[124:125], v[18:19], v[126:127], -v[128:129]
	s_waitcnt vmcnt(17)
	v_mul_f64 v[247:248], v[80:81], v[171:172]
	s_waitcnt vmcnt(16)
	v_mul_f64 v[249:250], v[94:95], v[175:176]
	;; [unrolled: 2-line block ×3, first 2 shown]
	v_mul_f64 v[175:176], v[58:59], v[175:176]
	v_fma_f64 v[120:121], v[56:57], v[122:123], v[130:131]
	v_fma_f64 v[126:127], v[92:93], v[122:123], -v[132:133]
	v_fma_f64 v[122:123], v[38:39], v[116:117], v[138:139]
	v_fma_f64 v[128:129], v[70:71], v[116:117], -v[144:145]
	;; [unrolled: 2-line block ×3, first 2 shown]
	v_mul_f64 v[18:19], v[40:41], v[179:180]
	s_waitcnt vmcnt(14)
	v_mul_f64 v[22:23], v[90:91], v[183:184]
	v_fma_f64 v[84:85], v[40:41], v[177:178], v[251:252]
	v_mul_f64 v[30:31], v[54:55], v[183:184]
	s_waitcnt vmcnt(12)
	v_mul_f64 v[38:39], v[72:73], v[191:192]
	v_mul_f64 v[40:41], v[32:33], v[191:192]
	;; [unrolled: 1-line block ×3, first 2 shown]
	v_fma_f64 v[130:131], v[52:53], v[112:113], v[151:152]
	v_fma_f64 v[132:133], v[88:89], v[112:113], -v[114:115]
	v_fma_f64 v[70:71], v[44:45], v[169:170], v[247:248]
	v_fma_f64 v[112:113], v[94:95], v[173:174], -v[175:176]
	v_mul_f64 v[44:45], v[86:87], v[187:188]
	v_fma_f64 v[92:93], v[76:77], v[177:178], -v[18:19]
	v_fma_f64 v[76:77], v[54:55], v[181:182], v[22:23]
	v_mul_f64 v[18:19], v[50:51], v[187:188]
	s_waitcnt vmcnt(11)
	v_mul_f64 v[22:23], v[82:83], v[195:196]
	v_fma_f64 v[94:95], v[90:91], v[181:182], -v[30:31]
	v_fma_f64 v[88:89], v[32:33], v[189:190], v[38:39]
	v_fma_f64 v[116:117], v[72:73], v[189:190], -v[40:41]
	v_mul_f64 v[30:31], v[46:47], v[195:196]
	s_waitcnt vmcnt(10)
	v_mul_f64 v[32:33], v[68:69], v[199:200]
	s_waitcnt vmcnt(9)
	v_mul_f64 v[40:41], v[78:79], v[203:204]
	v_fma_f64 v[138:139], v[66:67], v[134:135], -v[243:244]
	v_fma_f64 v[134:135], v[48:49], v[165:166], v[245:246]
	v_fma_f64 v[90:91], v[50:51], v[185:186], v[44:45]
	v_fma_f64 v[86:87], v[86:87], v[185:186], -v[18:19]
	v_fma_f64 v[18:19], v[46:47], v[193:194], v[22:23]
	v_mul_f64 v[38:39], v[36:37], v[199:200]
	v_mul_f64 v[44:45], v[42:43], v[203:204]
	s_waitcnt vmcnt(8)
	v_mul_f64 v[46:47], v[64:65], v[207:208]
	v_fma_f64 v[52:53], v[82:83], v[193:194], -v[30:31]
	v_fma_f64 v[22:23], v[36:37], v[197:198], v[32:33]
	v_mul_f64 v[36:37], v[28:29], v[207:208]
	s_waitcnt vmcnt(6)
	v_mul_f64 v[48:49], v[74:75], v[215:216]
	v_fma_f64 v[30:31], v[42:43], v[201:202], v[40:41]
	v_mul_f64 v[40:41], v[110:111], v[211:212]
	v_fma_f64 v[66:67], v[68:69], v[197:198], -v[38:39]
	v_fma_f64 v[32:33], v[78:79], v[201:202], -v[44:45]
	v_fma_f64 v[28:29], v[28:29], v[205:206], v[46:47]
	v_mul_f64 v[38:39], v[34:35], v[215:216]
	v_fma_f64 v[54:55], v[64:65], v[205:206], -v[36:37]
	v_fma_f64 v[34:35], v[34:35], v[213:214], v[48:49]
	v_mul_f64 v[36:37], v[108:109], v[211:212]
	s_waitcnt vmcnt(5)
	v_mul_f64 v[42:43], v[60:61], v[219:220]
	v_mul_f64 v[44:45], v[24:25], v[219:220]
	s_waitcnt vmcnt(4)
	v_mul_f64 v[46:47], v[62:63], v[223:224]
	v_fma_f64 v[56:57], v[108:109], v[209:210], v[40:41]
	v_mul_f64 v[40:41], v[26:27], v[223:224]
	s_waitcnt vmcnt(3)
	v_mul_f64 v[48:49], v[12:13], v[227:228]
	v_fma_f64 v[64:65], v[74:75], v[213:214], -v[38:39]
	v_fma_f64 v[68:69], v[110:111], v[209:210], -v[36:37]
	v_fma_f64 v[36:37], v[24:25], v[217:218], v[42:43]
	v_fma_f64 v[42:43], v[60:61], v[217:218], -v[44:45]
	v_fma_f64 v[38:39], v[26:27], v[221:222], v[46:47]
	v_mul_f64 v[24:25], v[4:5], v[227:228]
	s_waitcnt vmcnt(2)
	v_mul_f64 v[26:27], v[14:15], v[231:232]
	v_fma_f64 v[44:45], v[62:63], v[221:222], -v[40:41]
	v_fma_f64 v[40:41], v[4:5], v[225:226], v[48:49]
	v_add_f64 v[4:5], v[118:119], v[134:135]
	v_add_f64 v[60:61], v[120:121], v[136:137]
	v_mul_f64 v[50:51], v[6:7], v[231:232]
	v_add_f64 v[62:63], v[124:125], -v[144:145]
	v_fma_f64 v[46:47], v[12:13], v[225:226], -v[24:25]
	v_fma_f64 v[48:49], v[6:7], v[229:230], v[26:27]
	v_add_f64 v[6:7], v[126:127], -v[138:139]
	v_add_f64 v[12:13], v[122:123], v[130:131]
	v_add_f64 v[24:25], v[132:133], -v[128:129]
	v_add_f64 v[26:27], v[60:61], v[4:5]
	v_add_f64 v[78:79], v[60:61], -v[4:5]
	v_fma_f64 v[114:115], v[80:81], v[169:170], -v[171:172]
	v_fma_f64 v[80:81], v[58:59], v[173:174], v[249:250]
	s_waitcnt vmcnt(0)
	v_mul_f64 v[58:59], v[8:9], v[239:240]
	v_fma_f64 v[50:51], v[14:15], v[229:230], -v[50:51]
	v_add_f64 v[4:5], v[4:5], -v[12:13]
	v_add_f64 v[72:73], v[24:25], v[6:7]
	v_add_f64 v[26:27], v[12:13], v[26:27]
	v_add_f64 v[12:13], v[12:13], -v[60:61]
	v_add_f64 v[60:61], v[24:25], -v[6:7]
	;; [unrolled: 1-line block ×4, first 2 shown]
	v_fma_f64 v[58:59], v[0:1], v[237:238], v[58:59]
	v_mul_f64 v[4:5], v[4:5], s[8:9]
	v_add_f64 v[62:63], v[72:73], v[62:63]
	v_add_f64 v[20:21], v[20:21], v[26:27]
	v_mul_f64 v[72:73], v[12:13], s[6:7]
	v_mul_f64 v[60:61], v[60:61], s[16:17]
	;; [unrolled: 1-line block ×5, first 2 shown]
	v_fma_f64 v[12:13], v[12:13], s[6:7], v[4:5]
	v_fma_f64 v[4:5], v[78:79], s[24:25], -v[4:5]
	v_fma_f64 v[26:27], v[26:27], s[18:19], v[20:21]
	v_fma_f64 v[72:73], v[78:79], s[22:23], -v[72:73]
	;; [unrolled: 2-line block ×3, first 2 shown]
	v_mul_f64 v[74:75], v[2:3], v[235:236]
	v_fma_f64 v[24:25], v[24:25], s[30:31], -v[82:83]
	v_add_f64 v[108:109], v[80:81], v[88:89]
	v_fma_f64 v[60:61], v[8:9], v[237:238], -v[0:1]
	v_add_f64 v[12:13], v[12:13], v[26:27]
	v_add_f64 v[82:83], v[72:73], v[26:27]
	;; [unrolled: 1-line block ×3, first 2 shown]
	v_fma_f64 v[26:27], v[62:63], s[28:29], v[78:79]
	v_add_f64 v[78:79], v[70:71], v[90:91]
	v_fma_f64 v[6:7], v[62:63], s[28:29], v[6:7]
	v_fma_f64 v[24:25], v[62:63], s[28:29], v[24:25]
	;; [unrolled: 1-line block ×3, first 2 shown]
	v_fma_f64 v[74:75], v[10:11], v[233:234], -v[74:75]
	v_add_f64 v[8:9], v[84:85], v[76:77]
	v_add_f64 v[62:63], v[112:113], -v[116:117]
	v_add_f64 v[110:111], v[94:95], -v[92:93]
	v_add_f64 v[10:11], v[108:109], v[78:79]
	v_add_f64 v[14:15], v[82:83], -v[6:7]
	v_add_f64 v[6:7], v[6:7], v[82:83]
	;; [unrolled: 2-line block ×3, first 2 shown]
	v_add_f64 v[2:3], v[24:25], v[4:5]
	v_add_f64 v[4:5], v[4:5], -v[24:25]
	v_add_f64 v[12:13], v[12:13], -v[26:27]
	v_add_f64 v[10:11], v[8:9], v[10:11]
	v_add_f64 v[24:25], v[78:79], -v[8:9]
	v_add_f64 v[8:9], v[8:9], -v[108:109]
	;; [unrolled: 3-line block ×3, first 2 shown]
	v_add_f64 v[78:79], v[108:109], -v[78:79]
	v_add_f64 v[108:109], v[82:83], -v[110:111]
	v_add_f64 v[104:105], v[104:105], v[10:11]
	v_mul_f64 v[24:25], v[24:25], s[8:9]
	v_mul_f64 v[110:111], v[8:9], s[6:7]
	v_add_f64 v[26:27], v[26:27], v[82:83]
	v_mul_f64 v[82:83], v[151:152], s[16:17]
	v_mul_f64 v[151:152], v[62:63], s[14:15]
	v_add_f64 v[165:166], v[18:19], v[56:57]
	v_add_f64 v[167:168], v[22:23], v[34:35]
	v_fma_f64 v[10:11], v[10:11], s[18:19], v[104:105]
	v_fma_f64 v[8:9], v[8:9], s[6:7], v[24:25]
	v_fma_f64 v[110:111], v[78:79], s[22:23], -v[110:111]
	v_fma_f64 v[24:25], v[78:79], s[24:25], -v[24:25]
	v_fma_f64 v[78:79], v[108:109], s[26:27], v[82:83]
	v_fma_f64 v[62:63], v[62:63], s[14:15], -v[82:83]
	v_add_f64 v[82:83], v[30:31], v[28:29]
	v_add_f64 v[169:170], v[167:168], v[165:166]
	v_fma_f64 v[108:109], v[108:109], s[30:31], -v[151:152]
	v_add_f64 v[151:152], v[66:67], -v[64:65]
	v_add_f64 v[171:172], v[54:55], -v[32:33]
	;; [unrolled: 1-line block ×3, first 2 shown]
	v_add_f64 v[8:9], v[8:9], v[10:11]
	v_add_f64 v[110:111], v[110:111], v[10:11]
	;; [unrolled: 1-line block ×4, first 2 shown]
	v_add_f64 v[169:170], v[165:166], -v[82:83]
	v_add_f64 v[82:83], v[82:83], -v[167:168]
	;; [unrolled: 1-line block ×5, first 2 shown]
	v_add_f64 v[151:152], v[171:172], v[151:152]
	v_add_f64 v[171:172], v[173:174], -v[171:172]
	v_add_f64 v[100:101], v[100:101], v[24:25]
	v_mul_f64 v[167:168], v[169:170], s[8:9]
	v_mul_f64 v[169:170], v[82:83], s[6:7]
	;; [unrolled: 1-line block ×4, first 2 shown]
	v_fma_f64 v[78:79], v[26:27], s[28:29], v[78:79]
	v_add_f64 v[151:152], v[151:152], v[173:174]
	v_fma_f64 v[62:63], v[26:27], s[28:29], v[62:63]
	v_fma_f64 v[24:25], v[24:25], s[18:19], v[100:101]
	v_fma_f64 v[82:83], v[82:83], s[6:7], v[167:168]
	v_fma_f64 v[169:170], v[165:166], s[22:23], -v[169:170]
	v_fma_f64 v[165:166], v[165:166], s[24:25], -v[167:168]
	v_fma_f64 v[167:168], v[171:172], s[26:27], v[175:176]
	v_fma_f64 v[171:172], v[171:172], s[30:31], -v[179:180]
	v_fma_f64 v[173:174], v[177:178], s[14:15], -v[175:176]
	v_fma_f64 v[26:27], v[26:27], s[28:29], v[108:109]
	v_add_f64 v[108:109], v[78:79], v[8:9]
	v_add_f64 v[82:83], v[82:83], v[24:25]
	;; [unrolled: 1-line block ×4, first 2 shown]
	v_fma_f64 v[165:166], v[151:152], s[28:29], v[167:168]
	v_fma_f64 v[167:168], v[151:152], s[28:29], v[171:172]
	;; [unrolled: 1-line block ×3, first 2 shown]
	v_add_f64 v[171:172], v[26:27], v[10:11]
	v_add_f64 v[10:11], v[10:11], -v[26:27]
	v_add_f64 v[173:174], v[110:111], -v[62:63]
	v_add_f64 v[62:63], v[62:63], v[110:111]
	v_add_f64 v[8:9], v[8:9], -v[78:79]
	v_add_f64 v[26:27], v[165:166], v[82:83]
	v_add_f64 v[110:111], v[167:168], v[24:25]
	v_add_f64 v[175:176], v[169:170], -v[151:152]
	v_mov_b32_e32 v78, 0x9d8
	v_add_f64 v[151:152], v[151:152], v[169:170]
	v_add_f64 v[24:25], v[24:25], -v[167:168]
	v_cndmask_b32_e64 v78, 0, v78, s[2:3]
	v_lshlrev_b32_e32 v79, 3, v146
	v_add_f64 v[165:166], v[82:83], -v[165:166]
	v_add3_u32 v79, 0, v78, v79
	ds_write2_b64 v79, v[20:21], v[0:1] offset1:45
	ds_write2_b64 v79, v[2:3], v[14:15] offset0:90 offset1:135
	ds_write2_b64 v79, v[6:7], v[4:5] offset0:180 offset1:225
	ds_write_b64 v79, v[12:13] offset:2160
	v_mov_b32_e32 v1, 3
	v_mul_u32_u24_e32 v0, 0x9d8, v147
	v_lshlrev_b32_sdwa v2, v1, v148 dst_sel:DWORD dst_unused:UNUSED_PAD src0_sel:DWORD src1_sel:BYTE_0
	v_add3_u32 v82, 0, v0, v2
	v_mul_u32_u24_e32 v0, 0x9d8, v149
	v_lshlrev_b32_sdwa v1, v1, v150 dst_sel:DWORD dst_unused:UNUSED_PAD src0_sel:DWORD src1_sel:BYTE_0
	v_add3_u32 v83, 0, v0, v1
	v_lshl_add_u32 v78, v153, 3, 0
	ds_write2_b64 v82, v[104:105], v[108:109] offset1:45
	ds_write2_b64 v82, v[171:172], v[173:174] offset0:90 offset1:135
	ds_write2_b64 v82, v[62:63], v[10:11] offset0:180 offset1:225
	ds_write_b64 v82, v[8:9] offset:2160
	ds_write2_b64 v83, v[100:101], v[26:27] offset1:45
	ds_write2_b64 v83, v[110:111], v[175:176] offset0:90 offset1:135
	ds_write2_b64 v83, v[151:152], v[24:25] offset0:180 offset1:225
	ds_write_b64 v83, v[165:166] offset:2160
	s_and_saveexec_b64 s[2:3], s[0:1]
	s_cbranch_execz .LBB0_33
; %bb.32:
	v_add_f64 v[0:1], v[38:39], v[58:59]
	v_add_f64 v[2:3], v[36:37], v[72:73]
	v_add_f64 v[4:5], v[50:51], -v[46:47]
	v_add_f64 v[6:7], v[44:45], -v[60:61]
	v_add_f64 v[8:9], v[40:41], v[48:49]
	v_add_f64 v[10:11], v[42:43], -v[74:75]
	v_add_f64 v[12:13], v[0:1], v[2:3]
	v_add_f64 v[14:15], v[4:5], -v[6:7]
	v_add_f64 v[20:21], v[2:3], -v[8:9]
	;; [unrolled: 1-line block ×4, first 2 shown]
	v_add_f64 v[6:7], v[4:5], v[6:7]
	v_add_f64 v[4:5], v[10:11], -v[4:5]
	v_add_f64 v[8:9], v[8:9], v[12:13]
	v_add_f64 v[0:1], v[0:1], -v[2:3]
	v_mul_f64 v[2:3], v[14:15], s[16:17]
	v_mul_f64 v[12:13], v[20:21], s[8:9]
	;; [unrolled: 1-line block ×4, first 2 shown]
	v_add_f64 v[6:7], v[6:7], v[10:11]
	v_add_f64 v[20:21], v[96:97], v[8:9]
	v_fma_f64 v[10:11], v[4:5], s[26:27], v[2:3]
	v_fma_f64 v[96:97], v[0:1], s[24:25], -v[12:13]
	v_fma_f64 v[4:5], v[4:5], s[30:31], -v[14:15]
	;; [unrolled: 1-line block ×4, first 2 shown]
	v_fma_f64 v[12:13], v[26:27], s[6:7], v[12:13]
	v_fma_f64 v[8:9], v[8:9], s[18:19], v[20:21]
	;; [unrolled: 1-line block ×5, first 2 shown]
	v_add_f64 v[6:7], v[96:97], v[8:9]
	v_add_f64 v[0:1], v[0:1], v[8:9]
	;; [unrolled: 1-line block ×3, first 2 shown]
	v_add_f64 v[12:13], v[6:7], -v[4:5]
	v_add_f64 v[14:15], v[0:1], -v[2:3]
	v_add_f64 v[24:25], v[10:11], v[8:9]
	v_add_f64 v[4:5], v[4:5], v[6:7]
	;; [unrolled: 1-line block ×3, first 2 shown]
	v_add_f64 v[2:3], v[8:9], -v[10:11]
	v_add_u32_e32 v6, 0x2400, v78
	v_add_u32_e32 v7, 0x2800, v78
	ds_write2_b64 v6, v[20:21], v[24:25] offset0:108 offset1:153
	ds_write2_b64 v7, v[4:5], v[14:15] offset0:70 offset1:115
	;; [unrolled: 1-line block ×3, first 2 shown]
	ds_write_b64 v78, v[2:3] offset:12240
.LBB0_33:
	s_or_b64 exec, exec, s[2:3]
	v_add_f64 v[0:1], v[124:125], v[144:145]
	v_add_f64 v[2:3], v[126:127], v[138:139]
	v_add_f64 v[4:5], v[120:121], -v[136:137]
	v_add_f64 v[6:7], v[128:129], v[132:133]
	v_add_f64 v[8:9], v[130:131], -v[122:123]
	v_add_f64 v[10:11], v[118:119], -v[134:135]
	v_add_f64 v[24:25], v[114:115], v[86:87]
	v_add_f64 v[62:63], v[112:113], v[116:117]
	v_add_f64 v[18:19], v[18:19], -v[56:57]
	v_add_f64 v[12:13], v[2:3], v[0:1]
	s_waitcnt lgkmcnt(0)
	v_add_f64 v[14:15], v[0:1], -v[6:7]
	v_add_f64 v[20:21], v[8:9], -v[4:5]
	;; [unrolled: 1-line block ×3, first 2 shown]
	v_add_f64 v[4:5], v[8:9], v[4:5]
	v_add_f64 v[8:9], v[10:11], -v[8:9]
	v_add_f64 v[0:1], v[2:3], -v[0:1]
	v_add_f64 v[12:13], v[6:7], v[12:13]
	v_add_f64 v[6:7], v[6:7], -v[2:3]
	v_mul_f64 v[14:15], v[14:15], s[8:9]
	v_mul_f64 v[20:21], v[20:21], s[16:17]
	;; [unrolled: 1-line block ×3, first 2 shown]
	v_add_f64 v[4:5], v[4:5], v[10:11]
	; wave barrier
	v_add_f64 v[96:97], v[16:17], v[12:13]
	v_mul_f64 v[2:3], v[6:7], s[6:7]
	v_fma_f64 v[6:7], v[6:7], s[6:7], v[14:15]
	v_fma_f64 v[10:11], v[8:9], s[26:27], v[20:21]
	v_fma_f64 v[16:17], v[26:27], s[14:15], -v[20:21]
	v_fma_f64 v[8:9], v[8:9], s[30:31], -v[86:87]
	;; [unrolled: 1-line block ×3, first 2 shown]
	v_add_f64 v[20:21], v[62:63], v[24:25]
	v_fma_f64 v[12:13], v[12:13], s[18:19], v[96:97]
	v_fma_f64 v[0:1], v[0:1], s[22:23], -v[2:3]
	v_add_f64 v[2:3], v[92:93], v[94:95]
	v_fma_f64 v[10:11], v[4:5], s[28:29], v[10:11]
	v_fma_f64 v[16:17], v[4:5], s[28:29], v[16:17]
	v_fma_f64 v[4:5], v[4:5], s[28:29], v[8:9]
	v_add_f64 v[26:27], v[76:77], -v[84:85]
	v_add_f64 v[6:7], v[6:7], v[12:13]
	v_add_f64 v[8:9], v[14:15], v[12:13]
	;; [unrolled: 1-line block ×3, first 2 shown]
	v_add_f64 v[12:13], v[70:71], -v[90:91]
	v_add_f64 v[14:15], v[80:81], -v[88:89]
	;; [unrolled: 1-line block ×3, first 2 shown]
	v_add_f64 v[20:21], v[2:3], v[20:21]
	v_add_f64 v[76:77], v[6:7], -v[10:11]
	v_add_f64 v[80:81], v[8:9], -v[4:5]
	v_add_f64 v[84:85], v[16:17], v[0:1]
	v_add_f64 v[86:87], v[0:1], -v[16:17]
	v_add_f64 v[88:89], v[4:5], v[8:9]
	v_add_f64 v[90:91], v[10:11], v[6:7]
	v_add_f64 v[0:1], v[2:3], -v[62:63]
	v_add_f64 v[2:3], v[26:27], v[14:15]
	v_add_f64 v[4:5], v[26:27], -v[14:15]
	v_add_f64 v[6:7], v[14:15], -v[12:13]
	;; [unrolled: 1-line block ×4, first 2 shown]
	v_add_f64 v[92:93], v[106:107], v[20:21]
	v_mul_f64 v[14:15], v[70:71], s[8:9]
	v_mul_f64 v[16:17], v[0:1], s[6:7]
	v_add_f64 v[2:3], v[2:3], v[12:13]
	v_mul_f64 v[4:5], v[4:5], s[16:17]
	v_mul_f64 v[12:13], v[6:7], s[14:15]
	v_add_f64 v[24:25], v[52:53], v[68:69]
	v_add_f64 v[26:27], v[66:67], v[64:65]
	v_fma_f64 v[20:21], v[20:21], s[18:19], v[92:93]
	v_fma_f64 v[0:1], v[0:1], s[6:7], v[14:15]
	v_fma_f64 v[16:17], v[8:9], s[22:23], -v[16:17]
	v_fma_f64 v[8:9], v[8:9], s[24:25], -v[14:15]
	v_fma_f64 v[14:15], v[10:11], s[26:27], v[4:5]
	v_fma_f64 v[4:5], v[6:7], s[14:15], -v[4:5]
	v_add_f64 v[6:7], v[32:33], v[54:55]
	v_add_f64 v[32:33], v[26:27], v[24:25]
	v_fma_f64 v[10:11], v[10:11], s[30:31], -v[12:13]
	v_add_f64 v[12:13], v[22:23], -v[34:35]
	v_add_f64 v[22:23], v[28:29], -v[30:31]
	v_add_f64 v[0:1], v[0:1], v[20:21]
	v_add_f64 v[16:17], v[16:17], v[20:21]
	;; [unrolled: 1-line block ×3, first 2 shown]
	v_add_f64 v[28:29], v[24:25], -v[6:7]
	v_add_f64 v[20:21], v[6:7], v[32:33]
	v_add_f64 v[6:7], v[6:7], -v[26:27]
	v_add_f64 v[32:33], v[12:13], -v[18:19]
	;; [unrolled: 1-line block ×4, first 2 shown]
	v_add_f64 v[12:13], v[22:23], v[12:13]
	v_add_f64 v[22:23], v[18:19], -v[22:23]
	v_mul_f64 v[26:27], v[28:29], s[8:9]
	v_add_f64 v[64:65], v[102:103], v[20:21]
	v_mul_f64 v[28:29], v[6:7], s[6:7]
	v_mul_f64 v[34:35], v[32:33], s[14:15]
	;; [unrolled: 1-line block ×3, first 2 shown]
	v_fma_f64 v[14:15], v[2:3], s[28:29], v[14:15]
	v_add_f64 v[12:13], v[12:13], v[18:19]
	v_fma_f64 v[4:5], v[2:3], s[28:29], v[4:5]
	v_fma_f64 v[6:7], v[6:7], s[6:7], v[26:27]
	;; [unrolled: 1-line block ×3, first 2 shown]
	v_fma_f64 v[20:21], v[24:25], s[22:23], -v[28:29]
	v_fma_f64 v[24:25], v[24:25], s[24:25], -v[26:27]
	v_fma_f64 v[26:27], v[22:23], s[26:27], v[30:31]
	v_fma_f64 v[22:23], v[22:23], s[30:31], -v[34:35]
	v_fma_f64 v[28:29], v[32:33], s[14:15], -v[30:31]
	v_fma_f64 v[2:3], v[2:3], s[28:29], v[10:11]
	v_add_f64 v[94:95], v[0:1], -v[14:15]
	v_add_f64 v[6:7], v[6:7], v[18:19]
	v_add_f64 v[10:11], v[20:21], v[18:19]
	;; [unrolled: 1-line block ×3, first 2 shown]
	v_fma_f64 v[20:21], v[12:13], s[28:29], v[26:27]
	v_fma_f64 v[22:23], v[12:13], s[28:29], v[22:23]
	;; [unrolled: 1-line block ×3, first 2 shown]
	v_add_f64 v[108:109], v[14:15], v[0:1]
	v_add_u32_e32 v0, 0x1000, v159
	v_add_f64 v[102:103], v[4:5], v[16:17]
	v_add_f64 v[104:105], v[16:17], -v[4:5]
	v_add_f64 v[100:101], v[8:9], -v[2:3]
	v_add_f64 v[110:111], v[6:7], -v[20:21]
	v_add_f64 v[120:121], v[20:21], v[6:7]
	ds_read2_b64 v[4:7], v0 offset0:118 offset1:181
	v_add_u32_e32 v0, 0x1800, v159
	v_add_f64 v[106:107], v[2:3], v[8:9]
	v_add_f64 v[114:115], v[12:13], v[10:11]
	v_add_f64 v[116:117], v[10:11], -v[12:13]
	ds_read2_b64 v[8:11], v0 offset0:114 offset1:177
	v_add_u32_e32 v0, 0x2400, v159
	v_add_u32_e32 v12, 0x800, v159
	;; [unrolled: 1-line block ×4, first 2 shown]
	v_add_f64 v[112:113], v[18:19], -v[22:23]
	v_add_f64 v[118:119], v[22:23], v[18:19]
	ds_read_b64 v[66:67], v159
	ds_read2_b64 v[0:3], v0 offset0:108 offset1:171
	ds_read2_b64 v[12:15], v12 offset0:122 offset1:185
	;; [unrolled: 1-line block ×3, first 2 shown]
	ds_read_b64 v[62:63], v161
	ds_read2_b64 v[24:27], v20 offset0:116 offset1:179
	v_add_u32_e32 v20, 0x2800, v159
	v_add_u32_e32 v28, 0xc00, v159
	;; [unrolled: 1-line block ×3, first 2 shown]
	ds_read2_b64 v[20:23], v20 offset0:106 offset1:169
	ds_read_b64 v[54:55], v162
	ds_read2_b64 v[28:31], v28 offset0:120 offset1:183
	ds_read2_b64 v[32:35], v32 offset0:110 offset1:173
	ds_read_b64 v[68:69], v164
	ds_read_b64 v[52:53], v163
	;; [unrolled: 1-line block ×3, first 2 shown]
	ds_read_b64 v[56:57], v159 offset:12096
	s_waitcnt lgkmcnt(0)
	; wave barrier
	s_waitcnt lgkmcnt(0)
	ds_write2_b64 v79, v[96:97], v[76:77] offset1:45
	ds_write2_b64 v79, v[80:81], v[84:85] offset0:90 offset1:135
	ds_write2_b64 v79, v[86:87], v[88:89] offset0:180 offset1:225
	ds_write_b64 v79, v[90:91] offset:2160
	ds_write2_b64 v82, v[92:93], v[94:95] offset1:45
	ds_write2_b64 v82, v[100:101], v[102:103] offset0:90 offset1:135
	ds_write2_b64 v82, v[104:105], v[106:107] offset0:180 offset1:225
	ds_write_b64 v82, v[108:109] offset:2160
	;; [unrolled: 4-line block ×3, first 2 shown]
	s_and_saveexec_b64 s[2:3], s[0:1]
	s_cbranch_execz .LBB0_35
; %bb.34:
	v_add_f64 v[42:43], v[42:43], v[74:75]
	v_add_f64 v[44:45], v[44:45], v[60:61]
	;; [unrolled: 1-line block ×3, first 2 shown]
	v_add_f64 v[40:41], v[48:49], -v[40:41]
	v_add_f64 v[38:39], v[38:39], -v[58:59]
	;; [unrolled: 1-line block ×3, first 2 shown]
	s_mov_b32 s0, 0x37e14327
	s_mov_b32 s1, 0x3fe948f6
	;; [unrolled: 1-line block ×3, first 2 shown]
	v_add_f64 v[48:49], v[44:45], v[42:43]
	v_add_f64 v[50:51], v[42:43], -v[46:47]
	v_add_f64 v[42:43], v[44:45], -v[42:43]
	v_add_f64 v[58:59], v[40:41], v[38:39]
	v_add_f64 v[60:61], v[40:41], -v[38:39]
	v_add_f64 v[38:39], v[38:39], -v[36:37]
	s_mov_b32 s9, 0x3fe11646
	v_add_f64 v[40:41], v[36:37], -v[40:41]
	v_add_f64 v[48:49], v[46:47], v[48:49]
	v_add_f64 v[46:47], v[46:47], -v[44:45]
	v_mul_f64 v[50:51], v[50:51], s[0:1]
	v_add_f64 v[36:37], v[58:59], v[36:37]
	v_mul_f64 v[58:59], v[60:61], s[8:9]
	v_mul_f64 v[60:61], v[38:39], s[14:15]
	s_mov_b32 s1, 0x3fe77f67
	s_mov_b32 s0, 0x5476071b
	v_add_f64 v[64:65], v[98:99], v[48:49]
	v_mul_f64 v[44:45], v[46:47], s[6:7]
	s_mov_b32 s16, 0xaaaaaaaa
	s_mov_b32 s17, 0xbff2aaaa
	v_fma_f64 v[46:47], v[46:47], s[6:7], v[50:51]
	v_fma_f64 v[38:39], v[38:39], s[14:15], -v[58:59]
	v_fma_f64 v[48:49], v[48:49], s[16:17], v[64:65]
	v_fma_f64 v[44:45], v[42:43], s[0:1], -v[44:45]
	s_mov_b32 s1, 0xbfe77f67
	v_fma_f64 v[42:43], v[42:43], s[0:1], -v[50:51]
	s_mov_b32 s1, 0xbfd5d0dc
	s_mov_b32 s0, 0xb247c609
	v_fma_f64 v[50:51], v[40:41], s[0:1], v[58:59]
	s_mov_b32 s1, 0x3fd5d0dc
	v_fma_f64 v[40:41], v[40:41], s[0:1], -v[60:61]
	s_mov_b32 s0, 0x37c3f68c
	s_mov_b32 s1, 0xbfdc38aa
	v_add_f64 v[46:47], v[46:47], v[48:49]
	v_add_f64 v[44:45], v[44:45], v[48:49]
	;; [unrolled: 1-line block ×3, first 2 shown]
	v_fma_f64 v[48:49], v[36:37], s[0:1], v[50:51]
	v_fma_f64 v[40:41], v[36:37], s[0:1], v[40:41]
	;; [unrolled: 1-line block ×3, first 2 shown]
	v_add_f64 v[38:39], v[46:47], -v[48:49]
	v_add_f64 v[50:51], v[42:43], -v[40:41]
	v_add_f64 v[58:59], v[36:37], v[44:45]
	v_add_f64 v[36:37], v[44:45], -v[36:37]
	v_add_f64 v[40:41], v[40:41], v[42:43]
	v_add_f64 v[42:43], v[48:49], v[46:47]
	v_add_u32_e32 v44, 0x2400, v78
	ds_write2_b64 v44, v[64:65], v[38:39] offset0:108 offset1:153
	v_add_u32_e32 v38, 0x2800, v78
	ds_write2_b64 v38, v[50:51], v[58:59] offset0:70 offset1:115
	ds_write2_b64 v38, v[36:37], v[40:41] offset0:160 offset1:205
	ds_write_b64 v78, v[42:43] offset:12240
.LBB0_35:
	s_or_b64 exec, exec, s[2:3]
	s_waitcnt lgkmcnt(0)
	; wave barrier
	s_waitcnt lgkmcnt(0)
	s_and_saveexec_b64 s[0:1], vcc
	s_cbranch_execz .LBB0_37
; %bb.36:
	v_lshlrev_b32_e32 v74, 2, v158
	v_mov_b32_e32 v75, 0
	v_lshlrev_b64 v[36:37], 4, v[74:75]
	v_mov_b32_e32 v76, s13
	v_add_co_u32_e32 v36, vcc, s12, v36
	v_addc_co_u32_e32 v40, vcc, v76, v37, vcc
	v_add_co_u32_e32 v58, vcc, 0x1380, v36
	v_addc_co_u32_e32 v59, vcc, 0, v40, vcc
	v_add_co_u32_e32 v60, vcc, 0x1000, v36
	global_load_dwordx4 v[36:39], v[58:59], off offset:32
	global_load_dwordx4 v[48:51], v[58:59], off offset:16
	v_addc_co_u32_e32 v61, vcc, 0, v40, vcc
	global_load_dwordx4 v[40:43], v[60:61], off offset:896
	global_load_dwordx4 v[44:47], v[58:59], off offset:48
	v_add_u32_e32 v60, 0x1800, v159
	v_add_u32_e32 v61, 0xc00, v159
	v_lshlrev_b32_e32 v74, 2, v157
	v_add_u32_e32 v64, 0x2000, v159
	ds_read_b64 v[129:130], v164
	ds_read_b64 v[105:106], v163
	;; [unrolled: 1-line block ×5, first 2 shown]
	ds_read_b64 v[107:108], v159 offset:12096
	ds_read_b64 v[133:134], v159
	ds_read2_b64 v[77:80], v60 offset0:114 offset1:177
	ds_read2_b64 v[81:84], v61 offset0:120 offset1:183
	;; [unrolled: 1-line block ×3, first 2 shown]
	v_lshlrev_b64 v[60:61], 4, v[74:75]
	s_movk_i32 s14, 0x1000
	v_add_co_u32_e32 v64, vcc, s12, v60
	v_addc_co_u32_e32 v65, vcc, v76, v61, vcc
	v_add_co_u32_e32 v60, vcc, s14, v64
	s_movk_i32 s13, 0x1380
	v_addc_co_u32_e32 v61, vcc, 0, v65, vcc
	global_load_dwordx4 v[89:92], v[60:61], off offset:896
	v_add_co_u32_e32 v60, vcc, s13, v64
	v_addc_co_u32_e32 v61, vcc, 0, v65, vcc
	global_load_dwordx4 v[93:96], v[60:61], off offset:48
	global_load_dwordx4 v[97:100], v[60:61], off offset:32
	;; [unrolled: 1-line block ×3, first 2 shown]
	v_mul_lo_u32 v58, s5, v142
	v_mul_lo_u32 v59, s4, v143
	v_mad_u64_u32 v[72:73], s[0:1], s4, v142, 0
	s_mov_b32 s4, 0x134454ff
	s_mov_b32 s5, 0x3fee6f0e
	v_add3_u32 v73, v73, v59, v58
	s_mov_b32 s9, 0xbfee6f0e
	s_mov_b32 s8, s4
	;; [unrolled: 1-line block ×4, first 2 shown]
	v_lshlrev_b32_e32 v74, 2, v156
	s_mov_b32 s0, 0x372fe950
	s_mov_b32 s1, 0x3fd3c6ef
	s_mov_b32 s7, 0x3fe2cf23
	s_mov_b32 s6, s2
	s_waitcnt vmcnt(7) lgkmcnt(0)
	v_mul_f64 v[64:65], v[87:88], v[38:39]
	s_waitcnt vmcnt(6)
	v_mul_f64 v[60:61], v[8:9], v[50:51]
	v_mul_f64 v[50:51], v[77:78], v[50:51]
	;; [unrolled: 1-line block ×3, first 2 shown]
	s_waitcnt vmcnt(5)
	v_mul_f64 v[109:110], v[30:31], v[42:43]
	s_waitcnt vmcnt(4)
	v_mul_f64 v[111:112], v[56:57], v[46:47]
	v_mul_f64 v[42:43], v[83:84], v[42:43]
	;; [unrolled: 1-line block ×3, first 2 shown]
	v_fma_f64 v[60:61], v[48:49], v[77:78], -v[60:61]
	v_fma_f64 v[8:9], v[8:9], v[48:49], v[50:51]
	v_fma_f64 v[50:51], v[34:35], v[36:37], v[64:65]
	v_fma_f64 v[34:35], v[36:37], v[87:88], -v[38:39]
	v_fma_f64 v[36:37], v[40:41], v[83:84], -v[109:110]
	;; [unrolled: 1-line block ×3, first 2 shown]
	v_fma_f64 v[30:31], v[30:31], v[40:41], v[42:43]
	v_fma_f64 v[46:47], v[56:57], v[44:45], v[46:47]
	v_lshlrev_b64 v[38:39], 4, v[74:75]
	v_add_f64 v[44:45], v[8:9], v[50:51]
	v_add_f64 v[42:43], v[60:61], v[34:35]
	v_add_f64 v[58:59], v[60:61], -v[36:37]
	v_add_f64 v[77:78], v[36:37], v[48:49]
	v_add_f64 v[64:65], v[34:35], -v[48:49]
	v_add_f64 v[83:84], v[30:31], -v[46:47]
	;; [unrolled: 1-line block ×5, first 2 shown]
	v_add_f64 v[115:116], v[30:31], v[46:47]
	v_add_f64 v[117:118], v[30:31], -v[8:9]
	v_add_f64 v[121:122], v[52:53], v[30:31]
	v_fma_f64 v[30:31], v[42:43], -0.5, v[105:106]
	v_add_f64 v[109:110], v[36:37], v[105:106]
	v_add_f64 v[40:41], v[8:9], -v[50:51]
	v_fma_f64 v[42:43], v[44:45], -0.5, v[52:53]
	v_fma_f64 v[44:45], v[77:78], -0.5, v[105:106]
	v_add_f64 v[58:59], v[58:59], v[64:65]
	v_add_f64 v[64:65], v[87:88], v[107:108]
	v_add_f64 v[56:57], v[60:61], -v[34:35]
	v_fma_f64 v[87:88], v[83:84], s[8:9], v[30:31]
	v_add_f64 v[60:61], v[60:61], v[109:110]
	v_fma_f64 v[52:53], v[115:116], -0.5, v[52:53]
	v_fma_f64 v[30:31], v[83:84], s[4:5], v[30:31]
	v_fma_f64 v[105:106], v[40:41], s[4:5], v[44:45]
	v_add_f64 v[113:114], v[50:51], -v[46:47]
	v_add_f64 v[36:37], v[36:37], -v[48:49]
	v_fma_f64 v[44:45], v[40:41], s[8:9], v[44:45]
	v_fma_f64 v[87:88], v[40:41], s[2:3], v[87:88]
	v_add_f64 v[34:35], v[34:35], v[60:61]
	v_fma_f64 v[60:61], v[56:57], s[8:9], v[52:53]
	v_fma_f64 v[52:53], v[56:57], s[4:5], v[52:53]
	;; [unrolled: 1-line block ×3, first 2 shown]
	v_add_co_u32_e32 v74, vcc, s12, v38
	v_fma_f64 v[40:41], v[40:41], s[6:7], v[30:31]
	v_fma_f64 v[30:31], v[64:65], s[0:1], v[87:88]
	v_addc_co_u32_e32 v88, vcc, v76, v39, vcc
	v_add_f64 v[77:78], v[111:112], v[113:114]
	v_fma_f64 v[109:110], v[36:37], s[4:5], v[42:43]
	v_add_f64 v[48:49], v[48:49], v[34:35]
	v_fma_f64 v[34:35], v[36:37], s[6:7], v[60:61]
	v_fma_f64 v[52:53], v[36:37], s[2:3], v[52:53]
	v_add_co_u32_e32 v38, vcc, s14, v74
	v_fma_f64 v[42:43], v[36:37], s[8:9], v[42:43]
	v_addc_co_u32_e32 v39, vcc, 0, v88, vcc
	v_add_f64 v[119:120], v[46:47], -v[50:51]
	v_fma_f64 v[83:84], v[83:84], s[6:7], v[44:45]
	v_fma_f64 v[36:37], v[58:59], s[0:1], v[105:106]
	global_load_dwordx4 v[105:108], v[38:39], off offset:896
	v_add_u32_e32 v87, 0x2800, v159
	v_fma_f64 v[34:35], v[77:78], s[0:1], v[34:35]
	v_fma_f64 v[38:39], v[77:78], s[0:1], v[52:53]
	;; [unrolled: 1-line block ×3, first 2 shown]
	ds_read2_b64 v[109:112], v87 offset0:106 offset1:169
	v_add_co_u32_e32 v87, vcc, s13, v74
	v_fma_f64 v[42:43], v[56:57], s[2:3], v[42:43]
	v_add_u32_e32 v56, 0x1400, v159
	v_addc_co_u32_e32 v88, vcc, 0, v88, vcc
	v_fma_f64 v[44:45], v[64:65], s[0:1], v[40:41]
	v_fma_f64 v[40:41], v[58:59], s[0:1], v[83:84]
	v_add_f64 v[64:65], v[117:118], v[119:120]
	v_add_f64 v[8:9], v[8:9], v[121:122]
	ds_read2_b64 v[58:61], v56 offset0:116 offset1:179
	global_load_dwordx4 v[113:116], v[87:88], off offset:48
	global_load_dwordx4 v[117:120], v[87:88], off offset:32
	;; [unrolled: 1-line block ×3, first 2 shown]
	s_waitcnt vmcnt(7)
	v_mul_f64 v[52:53], v[28:29], v[91:92]
	s_waitcnt vmcnt(4)
	v_mul_f64 v[56:57], v[26:27], v[103:104]
	v_mul_f64 v[135:136], v[32:33], v[99:100]
	v_mul_f64 v[83:84], v[22:23], v[95:96]
	s_waitcnt lgkmcnt(0)
	v_mul_f64 v[103:104], v[60:61], v[103:104]
	v_mul_f64 v[99:100], v[85:86], v[99:100]
	v_add_f64 v[8:9], v[8:9], v[50:51]
	v_fma_f64 v[42:43], v[64:65], s[0:1], v[42:43]
	v_fma_f64 v[52:53], v[89:90], v[81:82], -v[52:53]
	v_fma_f64 v[56:57], v[101:102], v[60:61], -v[56:57]
	v_mul_f64 v[60:61], v[81:82], v[91:92]
	v_mul_f64 v[81:82], v[111:112], v[95:96]
	v_fma_f64 v[85:86], v[97:98], v[85:86], -v[135:136]
	v_fma_f64 v[83:84], v[93:94], v[111:112], -v[83:84]
	v_fma_f64 v[111:112], v[26:27], v[101:102], v[103:104]
	v_fma_f64 v[32:33], v[32:33], v[97:98], v[99:100]
	v_add_f64 v[46:47], v[8:9], v[46:47]
	v_add_f64 v[50:51], v[56:57], -v[52:53]
	v_fma_f64 v[135:136], v[28:29], v[89:90], v[60:61]
	v_fma_f64 v[137:138], v[22:23], v[93:94], v[81:82]
	v_add_f64 v[22:23], v[56:57], v[85:86]
	v_add_f64 v[26:27], v[52:53], v[83:84]
	v_add_f64 v[60:61], v[85:86], -v[83:84]
	v_add_f64 v[81:82], v[111:112], -v[32:33]
	v_fma_f64 v[28:29], v[64:65], s[0:1], v[77:78]
	v_add_f64 v[87:88], v[52:53], -v[56:57]
	v_add_f64 v[89:90], v[83:84], -v[85:86]
	;; [unrolled: 1-line block ×3, first 2 shown]
	v_fma_f64 v[22:23], v[22:23], -0.5, v[125:126]
	v_fma_f64 v[26:27], v[26:27], -0.5, v[125:126]
	v_add_f64 v[50:51], v[50:51], v[60:61]
	v_add_f64 v[60:61], v[52:53], v[125:126]
	;; [unrolled: 1-line block ×3, first 2 shown]
	v_add_f64 v[125:126], v[56:57], -v[85:86]
	v_lshlrev_b32_e32 v74, 2, v155
	v_add_f64 v[97:98], v[52:53], -v[83:84]
	v_fma_f64 v[91:92], v[8:9], s[8:9], v[22:23]
	v_fma_f64 v[22:23], v[8:9], s[4:5], v[22:23]
	;; [unrolled: 1-line block ×4, first 2 shown]
	v_add_f64 v[60:61], v[56:57], v[60:61]
	v_fma_f64 v[77:78], v[77:78], -0.5, v[54:55]
	v_add_f64 v[56:57], v[87:88], v[89:90]
	v_add_f64 v[89:90], v[32:33], -v[137:138]
	v_fma_f64 v[87:88], v[81:82], s[2:3], v[91:92]
	v_fma_f64 v[81:82], v[81:82], s[6:7], v[22:23]
	;; [unrolled: 1-line block ×4, first 2 shown]
	v_add_f64 v[60:61], v[85:86], v[60:61]
	v_add_f64 v[85:86], v[111:112], -v[135:136]
	v_fma_f64 v[91:92], v[125:126], s[8:9], v[77:78]
	v_fma_f64 v[77:78], v[125:126], s[4:5], v[77:78]
	;; [unrolled: 1-line block ×4, first 2 shown]
	v_lshlrev_b64 v[81:82], 4, v[74:75]
	v_fma_f64 v[26:27], v[50:51], s[0:1], v[8:9]
	v_add_co_u32_e32 v74, vcc, s12, v81
	v_addc_co_u32_e32 v82, vcc, v76, v82, vcc
	v_add_co_u32_e32 v142, vcc, s13, v74
	v_add_f64 v[8:9], v[111:112], v[32:33]
	s_waitcnt vmcnt(3)
	v_mul_f64 v[103:104], v[14:15], v[107:108]
	v_addc_co_u32_e32 v143, vcc, 0, v82, vcc
	v_add_co_u32_e32 v81, vcc, s14, v74
	v_addc_co_u32_e32 v82, vcc, 0, v82, vcc
	v_add_u32_e32 v74, 0x800, v159
	v_fma_f64 v[52:53], v[50:51], s[0:1], v[64:65]
	v_add_f64 v[60:61], v[83:84], v[60:61]
	v_add_f64 v[64:65], v[85:86], v[89:90]
	v_fma_f64 v[50:51], v[97:98], s[6:7], v[91:92]
	global_load_dwordx4 v[81:84], v[81:82], off offset:896
	s_nop 0
	global_load_dwordx4 v[85:88], v[142:143], off offset:48
	ds_read2_b64 v[89:92], v74 offset0:122 offset1:185
	v_add_u32_e32 v74, 0x1c00, v159
	ds_read2_b64 v[93:96], v74 offset0:112 offset1:175
	v_add_f64 v[99:100], v[135:136], -v[111:112]
	v_add_f64 v[101:102], v[137:138], -v[32:33]
	v_fma_f64 v[8:9], v[8:9], -0.5, v[54:55]
	s_waitcnt lgkmcnt(1)
	v_fma_f64 v[146:147], v[105:106], v[91:92], -v[103:104]
	s_waitcnt vmcnt(2)
	v_mul_f64 v[103:104], v[58:59], v[123:124]
	v_mul_f64 v[144:145], v[20:21], v[115:116]
	s_waitcnt lgkmcnt(0)
	v_mul_f64 v[148:149], v[95:96], v[119:120]
	v_mul_f64 v[123:124], v[24:25], v[123:124]
	;; [unrolled: 1-line block ×3, first 2 shown]
	v_fma_f64 v[77:78], v[97:98], s[2:3], v[77:78]
	v_add_f64 v[150:151], v[99:100], v[101:102]
	v_fma_f64 v[152:153], v[97:98], s[4:5], v[8:9]
	v_fma_f64 v[8:9], v[97:98], s[8:9], v[8:9]
	;; [unrolled: 1-line block ×3, first 2 shown]
	global_load_dwordx4 v[97:100], v[142:143], off offset:32
	global_load_dwordx4 v[101:104], v[142:143], off offset:16
	v_fma_f64 v[144:145], v[113:114], v[109:110], -v[144:145]
	v_mul_f64 v[24:25], v[91:92], v[107:108]
	v_mul_f64 v[91:92], v[109:110], v[115:116]
	v_fma_f64 v[107:108], v[121:122], v[58:59], -v[123:124]
	v_fma_f64 v[95:96], v[117:118], v[95:96], -v[119:120]
	v_fma_f64 v[148:149], v[18:19], v[117:118], v[148:149]
	v_add_f64 v[54:55], v[54:55], v[135:136]
	v_fma_f64 v[8:9], v[125:126], s[2:3], v[8:9]
	v_add_f64 v[18:19], v[146:147], v[144:145]
	v_fma_f64 v[135:136], v[14:15], v[105:106], v[24:25]
	v_fma_f64 v[91:92], v[20:21], v[113:114], v[91:92]
	v_fma_f64 v[14:15], v[125:126], s[6:7], v[152:153]
	v_add_f64 v[105:106], v[107:108], v[95:96]
	v_add_f64 v[109:110], v[155:156], -v[148:149]
	v_add_f64 v[58:59], v[111:112], v[54:55]
	v_add_f64 v[111:112], v[107:108], -v[146:147]
	v_fma_f64 v[18:19], v[18:19], -0.5, v[127:128]
	v_add_f64 v[113:114], v[95:96], -v[144:145]
	v_add_f64 v[117:118], v[135:136], -v[91:92]
	v_fma_f64 v[54:55], v[150:151], s[0:1], v[8:9]
	v_fma_f64 v[8:9], v[105:106], -0.5, v[127:128]
	v_fma_f64 v[50:51], v[64:65], s[0:1], v[50:51]
	v_fma_f64 v[24:25], v[64:65], s[0:1], v[77:78]
	v_add_f64 v[105:106], v[146:147], -v[107:108]
	v_fma_f64 v[115:116], v[109:110], s[4:5], v[18:19]
	v_add_f64 v[64:65], v[111:112], v[113:114]
	v_fma_f64 v[18:19], v[109:110], s[8:9], v[18:19]
	v_add_f64 v[111:112], v[144:145], -v[95:96]
	v_fma_f64 v[113:114], v[117:118], s[8:9], v[8:9]
	v_fma_f64 v[8:9], v[117:118], s[4:5], v[8:9]
	;; [unrolled: 1-line block ×3, first 2 shown]
	v_add_f64 v[14:15], v[58:59], v[32:33]
	v_add_f64 v[32:33], v[146:147], v[127:128]
	v_fma_f64 v[77:78], v[117:118], s[2:3], v[115:116]
	v_fma_f64 v[18:19], v[117:118], s[6:7], v[18:19]
	v_add_f64 v[105:106], v[105:106], v[111:112]
	v_fma_f64 v[111:112], v[109:110], s[2:3], v[113:114]
	v_fma_f64 v[109:110], v[109:110], s[6:7], v[8:9]
	v_add_f64 v[113:114], v[155:156], -v[135:136]
	v_add_f64 v[58:59], v[14:15], v[137:138]
	v_add_f64 v[32:33], v[107:108], v[32:33]
	v_fma_f64 v[14:15], v[64:65], s[0:1], v[77:78]
	v_fma_f64 v[18:19], v[64:65], s[0:1], v[18:19]
	v_add_f64 v[77:78], v[135:136], v[91:92]
	v_fma_f64 v[8:9], v[105:106], s[0:1], v[111:112]
	v_fma_f64 v[64:65], v[105:106], s[0:1], v[109:110]
	v_add_f64 v[105:106], v[155:156], v[148:149]
	v_add_f64 v[115:116], v[148:149], -v[91:92]
	v_add_f64 v[32:33], v[95:96], v[32:33]
	v_add_u32_e32 v74, 0x1000, v159
	v_add_f64 v[95:96], v[107:108], -v[95:96]
	v_fma_f64 v[117:118], v[77:78], -0.5, v[62:63]
	v_add_f64 v[137:138], v[146:147], -v[144:145]
	v_add_f64 v[146:147], v[135:136], -v[155:156]
	v_fma_f64 v[152:153], v[105:106], -0.5, v[62:63]
	ds_read2_b64 v[105:108], v74 offset0:118 offset1:181
	v_lshlrev_b32_e32 v74, 2, v154
	v_lshlrev_b64 v[74:75], 4, v[74:75]
	v_add_f64 v[77:78], v[144:145], v[32:33]
	v_add_f64 v[32:33], v[113:114], v[115:116]
	v_add_co_u32_e32 v113, vcc, s12, v74
	v_addc_co_u32_e32 v76, vcc, v76, v75, vcc
	v_add_co_u32_e32 v74, vcc, s14, v113
	v_addc_co_u32_e32 v75, vcc, 0, v76, vcc
	global_load_dwordx4 v[109:112], v[74:75], off offset:896
	v_add_co_u32_e32 v74, vcc, s13, v113
	v_addc_co_u32_e32 v75, vcc, 0, v76, vcc
	v_fma_f64 v[142:143], v[95:96], s[8:9], v[117:118]
	v_fma_f64 v[144:145], v[95:96], s[4:5], v[117:118]
	global_load_dwordx4 v[113:116], v[74:75], off offset:48
	global_load_dwordx4 v[117:120], v[74:75], off offset:32
	;; [unrolled: 1-line block ×3, first 2 shown]
	s_waitcnt vmcnt(7)
	v_mul_f64 v[157:158], v[12:13], v[83:84]
	s_waitcnt vmcnt(6)
	v_mul_f64 v[160:161], v[2:3], v[87:88]
	v_add_u32_e32 v74, 0x2400, v159
	ds_read2_b64 v[125:128], v74 offset0:108 offset1:171
	v_add_f64 v[150:151], v[91:92], -v[148:149]
	v_fma_f64 v[74:75], v[137:138], s[6:7], v[142:143]
	s_waitcnt vmcnt(5)
	v_mul_f64 v[162:163], v[93:94], v[99:100]
	v_mul_f64 v[99:100], v[16:17], v[99:100]
	v_fma_f64 v[142:143], v[81:82], v[89:90], -v[157:158]
	s_waitcnt vmcnt(4) lgkmcnt(1)
	v_mul_f64 v[157:158], v[107:108], v[103:104]
	s_waitcnt lgkmcnt(0)
	v_fma_f64 v[159:160], v[85:86], v[127:128], -v[160:161]
	v_mul_f64 v[103:104], v[6:7], v[103:104]
	v_add_f64 v[146:147], v[146:147], v[150:151]
	v_fma_f64 v[150:151], v[137:138], s[4:5], v[152:153]
	v_fma_f64 v[161:162], v[16:17], v[97:98], v[162:163]
	v_mul_f64 v[16:17], v[89:90], v[83:84]
	v_mul_f64 v[83:84], v[127:128], v[87:88]
	v_fma_f64 v[157:158], v[6:7], v[101:102], v[157:158]
	v_add_f64 v[6:7], v[142:143], v[159:160]
	v_fma_f64 v[87:88], v[137:138], s[8:9], v[152:153]
	v_add_f64 v[62:63], v[62:63], v[135:136]
	v_fma_f64 v[89:90], v[101:102], v[107:108], -v[103:104]
	v_fma_f64 v[93:94], v[97:98], v[93:94], -v[99:100]
	v_fma_f64 v[144:145], v[137:138], s[2:3], v[144:145]
	v_fma_f64 v[101:102], v[12:13], v[81:82], v[16:17]
	v_add_f64 v[97:98], v[157:158], -v[161:162]
	v_fma_f64 v[99:100], v[6:7], -0.5, v[131:132]
	v_fma_f64 v[103:104], v[2:3], v[85:86], v[83:84]
	v_fma_f64 v[2:3], v[95:96], s[6:7], v[150:151]
	;; [unrolled: 1-line block ×3, first 2 shown]
	v_add_f64 v[83:84], v[155:156], v[62:63]
	v_add_f64 v[87:88], v[89:90], v[93:94]
	v_add_f64 v[85:86], v[89:90], -v[142:143]
	v_add_f64 v[95:96], v[93:94], -v[159:160]
	v_fma_f64 v[107:108], v[97:98], s[4:5], v[99:100]
	v_add_f64 v[127:128], v[101:102], -v[103:104]
	v_fma_f64 v[12:13], v[32:33], s[0:1], v[74:75]
	v_fma_f64 v[16:17], v[32:33], s[0:1], v[144:145]
	;; [unrolled: 1-line block ×3, first 2 shown]
	v_fma_f64 v[2:3], v[87:88], -0.5, v[131:132]
	v_add_f64 v[32:33], v[83:84], v[148:149]
	v_add_f64 v[87:88], v[101:102], v[103:104]
	v_fma_f64 v[62:63], v[146:147], s[0:1], v[81:82]
	v_add_f64 v[81:82], v[85:86], v[95:96]
	v_fma_f64 v[83:84], v[127:128], s[2:3], v[107:108]
	v_fma_f64 v[85:86], v[97:98], s[8:9], v[99:100]
	v_add_f64 v[95:96], v[142:143], -v[89:90]
	v_add_f64 v[99:100], v[159:160], -v[93:94]
	v_fma_f64 v[107:108], v[127:128], s[8:9], v[2:3]
	v_add_f64 v[75:76], v[32:33], v[91:92]
	v_add_f64 v[32:33], v[142:143], v[131:132]
	v_fma_f64 v[87:88], v[87:88], -0.5, v[70:71]
	v_add_f64 v[131:132], v[89:90], -v[93:94]
	v_fma_f64 v[85:86], v[127:128], s[6:7], v[85:86]
	v_fma_f64 v[83:84], v[81:82], s[0:1], v[83:84]
	v_add_f64 v[91:92], v[95:96], v[99:100]
	v_fma_f64 v[95:96], v[97:98], s[2:3], v[107:108]
	v_fma_f64 v[99:100], v[127:128], s[4:5], v[2:3]
	v_add_f64 v[32:33], v[89:90], v[32:33]
	v_add_f64 v[89:90], v[157:158], -v[101:102]
	v_add_f64 v[107:108], v[161:162], -v[103:104]
	;; [unrolled: 1-line block ×3, first 2 shown]
	v_fma_f64 v[135:136], v[131:132], s[8:9], v[87:88]
	v_fma_f64 v[137:138], v[131:132], s[4:5], v[87:88]
	;; [unrolled: 1-line block ×4, first 2 shown]
	v_add_f64 v[32:33], v[93:94], v[32:33]
	v_add_f64 v[85:86], v[157:158], v[161:162]
	;; [unrolled: 1-line block ×3, first 2 shown]
	v_fma_f64 v[2:3], v[91:92], s[0:1], v[95:96]
	v_fma_f64 v[93:94], v[127:128], s[6:7], v[135:136]
	;; [unrolled: 1-line block ×3, first 2 shown]
	v_add_f64 v[99:100], v[101:102], -v[157:158]
	v_add_f64 v[107:108], v[103:104], -v[161:162]
	v_fma_f64 v[91:92], v[91:92], s[0:1], v[81:82]
	v_add_f64 v[95:96], v[159:160], v[32:33]
	v_fma_f64 v[32:33], v[85:86], -0.5, v[70:71]
	s_waitcnt vmcnt(3)
	v_mul_f64 v[135:136], v[68:69], v[111:112]
	v_fma_f64 v[81:82], v[89:90], s[0:1], v[93:94]
	v_fma_f64 v[85:86], v[89:90], s[0:1], v[97:98]
	s_waitcnt vmcnt(2)
	v_mul_f64 v[89:90], v[0:1], v[115:116]
	v_add_f64 v[93:94], v[99:100], v[107:108]
	s_waitcnt vmcnt(0)
	v_mul_f64 v[97:98], v[4:5], v[123:124]
	v_mul_f64 v[99:100], v[10:11], v[119:120]
	;; [unrolled: 1-line block ×3, first 2 shown]
	v_fma_f64 v[135:136], v[109:110], v[129:130], -v[135:136]
	v_mul_f64 v[119:120], v[79:80], v[119:120]
	v_fma_f64 v[107:108], v[127:128], s[4:5], v[32:33]
	v_fma_f64 v[137:138], v[113:114], v[125:126], -v[89:90]
	v_fma_f64 v[32:33], v[127:128], s[8:9], v[32:33]
	v_fma_f64 v[97:98], v[121:122], v[105:106], -v[97:98]
	v_fma_f64 v[79:80], v[117:118], v[79:80], -v[99:100]
	v_mul_f64 v[89:90], v[129:130], v[111:112]
	v_mul_f64 v[99:100], v[125:126], v[115:116]
	v_fma_f64 v[4:5], v[4:5], v[121:122], v[123:124]
	v_fma_f64 v[10:11], v[10:11], v[117:118], v[119:120]
	v_add_f64 v[105:106], v[135:136], v[137:138]
	v_add_f64 v[70:71], v[70:71], v[101:102]
	v_fma_f64 v[101:102], v[131:132], s[6:7], v[107:108]
	v_fma_f64 v[32:33], v[131:132], s[2:3], v[32:33]
	;; [unrolled: 1-line block ×4, first 2 shown]
	v_add_f64 v[68:69], v[97:98], v[79:80]
	v_add_f64 v[107:108], v[4:5], -v[10:11]
	v_fma_f64 v[99:100], v[105:106], -0.5, v[133:134]
	v_add_f64 v[70:71], v[157:158], v[70:71]
	v_add_f64 v[105:106], v[97:98], -v[135:136]
	v_add_f64 v[111:112], v[79:80], -v[137:138]
	v_fma_f64 v[0:1], v[93:94], s[0:1], v[101:102]
	v_add_f64 v[101:102], v[109:110], -v[113:114]
	v_fma_f64 v[68:69], v[68:69], -0.5, v[133:134]
	v_fma_f64 v[89:90], v[93:94], s[0:1], v[32:33]
	v_fma_f64 v[32:33], v[107:108], s[4:5], v[99:100]
	;; [unrolled: 1-line block ×3, first 2 shown]
	v_add_f64 v[70:71], v[70:71], v[161:162]
	v_add_f64 v[99:100], v[105:106], v[111:112]
	v_add_f64 v[105:106], v[135:136], -v[97:98]
	v_add_f64 v[111:112], v[137:138], -v[79:80]
	v_fma_f64 v[115:116], v[101:102], s[8:9], v[68:69]
	v_add_f64 v[117:118], v[135:136], v[133:134]
	v_fma_f64 v[32:33], v[101:102], s[2:3], v[32:33]
	v_fma_f64 v[119:120], v[101:102], s[6:7], v[93:94]
	;; [unrolled: 1-line block ×3, first 2 shown]
	v_add_f64 v[93:94], v[70:71], v[103:104]
	v_add_f64 v[70:71], v[109:110], v[113:114]
	;; [unrolled: 1-line block ×3, first 2 shown]
	v_fma_f64 v[103:104], v[107:108], s[2:3], v[115:116]
	v_add_f64 v[111:112], v[97:98], v[117:118]
	v_fma_f64 v[68:69], v[99:100], s[0:1], v[32:33]
	v_fma_f64 v[99:100], v[99:100], s[0:1], v[119:120]
	;; [unrolled: 1-line block ×3, first 2 shown]
	v_add_f64 v[101:102], v[4:5], v[10:11]
	v_fma_f64 v[70:71], v[70:71], -0.5, v[66:67]
	v_add_f64 v[97:98], v[97:98], -v[79:80]
	v_add_f64 v[115:116], v[4:5], -v[109:110]
	v_add_f64 v[79:80], v[79:80], v[111:112]
	v_add_f64 v[117:118], v[10:11], -v[113:114]
	v_add_f64 v[119:120], v[135:136], -v[137:138]
	v_fma_f64 v[107:108], v[105:106], s[0:1], v[32:33]
	v_fma_f64 v[101:102], v[101:102], -0.5, v[66:67]
	v_add_f64 v[66:67], v[66:67], v[109:110]
	v_fma_f64 v[32:33], v[97:98], s[8:9], v[70:71]
	v_fma_f64 v[70:71], v[97:98], s[4:5], v[70:71]
	v_add_f64 v[111:112], v[137:138], v[79:80]
	v_add_f64 v[79:80], v[115:116], v[117:118]
	v_fma_f64 v[103:104], v[105:106], s[0:1], v[103:104]
	v_add_f64 v[105:106], v[109:110], -v[4:5]
	v_fma_f64 v[115:116], v[119:120], s[4:5], v[101:102]
	s_mov_b32 s4, 0xa01a01a1
	v_mul_hi_u32 v74, v154, s4
	v_add_f64 v[121:122], v[113:114], -v[10:11]
	v_add_f64 v[4:5], v[4:5], v[66:67]
	v_fma_f64 v[101:102], v[119:120], s[8:9], v[101:102]
	v_sub_u32_e32 v66, v154, v74
	v_lshrrev_b32_e32 v66, 1, v66
	v_add_u32_e32 v66, v66, v74
	v_lshrrev_b32_e32 v66, 8, v66
	v_mul_u32_u24_e32 v66, 0x13b, v66
	v_add_f64 v[105:106], v[105:106], v[121:122]
	v_fma_f64 v[109:110], v[97:98], s[6:7], v[115:116]
	v_sub_u32_e32 v74, v154, v66
	v_add_f64 v[4:5], v[4:5], v[10:11]
	v_fma_f64 v[70:71], v[119:120], s[2:3], v[70:71]
	v_fma_f64 v[115:116], v[97:98], s[2:3], v[101:102]
	v_mad_u64_u32 v[117:118], s[2:3], s20, v74, 0
	v_fma_f64 v[32:33], v[119:120], s[6:7], v[32:33]
	v_fma_f64 v[101:102], v[105:106], s[0:1], v[109:110]
	v_mov_b32_e32 v10, v118
	v_mad_u64_u32 v[10:11], s[2:3], s21, v74, v[10:11]
	v_add_f64 v[109:110], v[4:5], v[113:114]
	v_lshlrev_b64 v[4:5], 4, v[72:73]
	v_fma_f64 v[97:98], v[79:80], s[0:1], v[70:71]
	v_fma_f64 v[66:67], v[79:80], s[0:1], v[32:33]
	v_mov_b32_e32 v118, v10
	v_mov_b32_e32 v10, s11
	v_add_co_u32_e32 v32, vcc, s10, v4
	v_add_u32_e32 v70, 0x13b, v74
	v_fma_f64 v[105:106], v[105:106], s[0:1], v[115:116]
	v_addc_co_u32_e32 v33, vcc, v10, v5, vcc
	v_mad_u64_u32 v[10:11], s[0:1], s20, v70, 0
	v_lshlrev_b64 v[4:5], 4, v[140:141]
	v_add_co_u32_e32 v72, vcc, v32, v4
	v_addc_co_u32_e32 v73, vcc, v33, v5, vcc
	v_mad_u64_u32 v[32:33], s[0:1], s21, v70, v[11:12]
	v_lshlrev_b64 v[4:5], 4, v[117:118]
	v_add_co_u32_e32 v4, vcc, v72, v4
	v_addc_co_u32_e32 v5, vcc, v73, v5, vcc
	v_mov_b32_e32 v11, v32
	v_add_u32_e32 v32, 0x276, v74
	global_store_dwordx4 v[4:5], v[109:112], off
	v_lshlrev_b64 v[4:5], 4, v[10:11]
	v_mad_u64_u32 v[10:11], s[0:1], s20, v32, 0
	v_add_co_u32_e32 v4, vcc, v72, v4
	v_mad_u64_u32 v[32:33], s[0:1], s21, v32, v[11:12]
	v_add_u32_e32 v33, 0x3b1, v74
	v_mad_u64_u32 v[70:71], s[0:1], s20, v33, 0
	v_addc_co_u32_e32 v5, vcc, v73, v5, vcc
	v_mov_b32_e32 v11, v32
	global_store_dwordx4 v[4:5], v[105:108], off
	v_lshlrev_b64 v[4:5], 4, v[10:11]
	v_mov_b32_e32 v10, v71
	v_mad_u64_u32 v[10:11], s[0:1], s21, v33, v[10:11]
	v_add_u32_e32 v32, 0x4ec, v74
	v_add_co_u32_e32 v4, vcc, v72, v4
	v_mov_b32_e32 v71, v10
	v_mad_u64_u32 v[10:11], s[0:1], s20, v32, 0
	v_addc_co_u32_e32 v5, vcc, v73, v5, vcc
	v_mad_u64_u32 v[32:33], s[0:1], s21, v32, v[11:12]
	v_add_u32_e32 v33, 63, v154
	global_store_dwordx4 v[4:5], v[97:100], off
	v_lshlrev_b64 v[4:5], 4, v[70:71]
	v_mul_hi_u32 v70, v33, s4
	v_add_co_u32_e32 v4, vcc, v72, v4
	v_addc_co_u32_e32 v5, vcc, v73, v5, vcc
	v_mov_b32_e32 v11, v32
	global_store_dwordx4 v[4:5], v[66:69], off
	v_lshlrev_b64 v[4:5], 4, v[10:11]
	v_sub_u32_e32 v10, v33, v70
	v_lshrrev_b32_e32 v10, 1, v10
	v_add_u32_e32 v10, v10, v70
	v_lshrrev_b32_e32 v10, 8, v10
	v_mul_u32_u24_e32 v11, 0x13b, v10
	v_sub_u32_e32 v11, v33, v11
	s_movk_i32 s0, 0x627
	v_mad_u32_u24 v68, v10, s0, v11
	v_mad_u64_u32 v[10:11], s[2:3], s20, v68, 0
	v_add_co_u32_e32 v4, vcc, v72, v4
	v_mad_u64_u32 v[32:33], s[2:3], s21, v68, v[11:12]
	v_add_u32_e32 v33, 0x13b, v68
	v_mad_u64_u32 v[66:67], s[2:3], s20, v33, 0
	v_addc_co_u32_e32 v5, vcc, v73, v5, vcc
	v_mov_b32_e32 v11, v32
	global_store_dwordx4 v[4:5], v[101:104], off
	v_lshlrev_b64 v[4:5], 4, v[10:11]
	v_mov_b32_e32 v10, v67
	v_mad_u64_u32 v[10:11], s[2:3], s21, v33, v[10:11]
	v_add_u32_e32 v32, 0x276, v68
	v_add_co_u32_e32 v4, vcc, v72, v4
	v_mov_b32_e32 v67, v10
	v_mad_u64_u32 v[10:11], s[2:3], s20, v32, 0
	v_addc_co_u32_e32 v5, vcc, v73, v5, vcc
	v_mad_u64_u32 v[32:33], s[2:3], s21, v32, v[11:12]
	v_add_u32_e32 v33, 0x3b1, v68
	global_store_dwordx4 v[4:5], v[93:96], off
	v_lshlrev_b64 v[4:5], 4, v[66:67]
	v_mad_u64_u32 v[66:67], s[2:3], s20, v33, 0
	v_add_co_u32_e32 v4, vcc, v72, v4
	v_addc_co_u32_e32 v5, vcc, v73, v5, vcc
	v_mov_b32_e32 v11, v32
	global_store_dwordx4 v[4:5], v[89:92], off
	v_lshlrev_b64 v[4:5], 4, v[10:11]
	v_mov_b32_e32 v10, v67
	v_mad_u64_u32 v[10:11], s[2:3], s21, v33, v[10:11]
	v_add_u32_e32 v32, 0x4ec, v68
	v_add_co_u32_e32 v4, vcc, v72, v4
	v_mov_b32_e32 v67, v10
	v_mad_u64_u32 v[10:11], s[2:3], s20, v32, 0
	v_addc_co_u32_e32 v5, vcc, v73, v5, vcc
	v_mad_u64_u32 v[32:33], s[2:3], s21, v32, v[11:12]
	v_add_u32_e32 v33, 0x7e, v154
	global_store_dwordx4 v[4:5], v[85:88], off
	v_lshlrev_b64 v[4:5], 4, v[66:67]
	v_mul_hi_u32 v66, v33, s4
	v_add_co_u32_e32 v4, vcc, v72, v4
	v_addc_co_u32_e32 v5, vcc, v73, v5, vcc
	v_mov_b32_e32 v11, v32
	global_store_dwordx4 v[4:5], v[81:84], off
	v_lshlrev_b64 v[4:5], 4, v[10:11]
	v_sub_u32_e32 v10, v33, v66
	v_lshrrev_b32_e32 v10, 1, v10
	v_add_u32_e32 v10, v10, v66
	v_lshrrev_b32_e32 v10, 8, v10
	v_mul_u32_u24_e32 v11, 0x13b, v10
	v_sub_u32_e32 v11, v33, v11
	v_mad_u32_u24 v68, v10, s0, v11
	v_mad_u64_u32 v[10:11], s[2:3], s20, v68, 0
	v_add_co_u32_e32 v4, vcc, v72, v4
	v_mad_u64_u32 v[32:33], s[2:3], s21, v68, v[11:12]
	v_add_u32_e32 v33, 0x13b, v68
	v_mad_u64_u32 v[66:67], s[2:3], s20, v33, 0
	v_addc_co_u32_e32 v5, vcc, v73, v5, vcc
	global_store_dwordx4 v[4:5], v[0:3], off
	v_add_u32_e32 v4, 0x276, v68
	v_mov_b32_e32 v2, v67
	v_mad_u64_u32 v[2:3], s[2:3], s21, v33, v[2:3]
	v_mov_b32_e32 v11, v32
	v_lshlrev_b64 v[0:1], 4, v[10:11]
	v_mov_b32_e32 v67, v2
	v_mad_u64_u32 v[2:3], s[2:3], s20, v4, 0
	v_add_co_u32_e32 v0, vcc, v72, v0
	v_addc_co_u32_e32 v1, vcc, v73, v1, vcc
	v_mad_u64_u32 v[3:4], s[2:3], s21, v4, v[3:4]
	v_add_u32_e32 v10, 0x3b1, v68
	global_store_dwordx4 v[0:1], v[75:78], off
	v_lshlrev_b64 v[0:1], 4, v[66:67]
	v_mad_u64_u32 v[4:5], s[2:3], s20, v10, 0
	v_add_co_u32_e32 v0, vcc, v72, v0
	v_addc_co_u32_e32 v1, vcc, v73, v1, vcc
	global_store_dwordx4 v[0:1], v[62:65], off
	v_lshlrev_b64 v[0:1], 4, v[2:3]
	v_mov_b32_e32 v2, v5
	v_mad_u64_u32 v[2:3], s[2:3], s21, v10, v[2:3]
	v_add_co_u32_e32 v0, vcc, v72, v0
	v_addc_co_u32_e32 v1, vcc, v73, v1, vcc
	v_mov_b32_e32 v5, v2
	global_store_dwordx4 v[0:1], v[16:19], off
	v_lshlrev_b64 v[0:1], 4, v[4:5]
	v_add_u32_e32 v4, 0x4ec, v68
	v_mad_u64_u32 v[2:3], s[2:3], s20, v4, 0
	v_add_co_u32_e32 v0, vcc, v72, v0
	v_mad_u64_u32 v[3:4], s[2:3], s21, v4, v[3:4]
	v_add_u32_e32 v4, 0xbd, v154
	v_mul_hi_u32 v5, v4, s4
	v_addc_co_u32_e32 v1, vcc, v73, v1, vcc
	global_store_dwordx4 v[0:1], v[12:15], off
	v_lshlrev_b64 v[0:1], 4, v[2:3]
	v_sub_u32_e32 v2, v4, v5
	v_lshrrev_b32_e32 v2, 1, v2
	v_add_u32_e32 v2, v2, v5
	v_lshrrev_b32_e32 v2, 8, v2
	v_mul_u32_u24_e32 v3, 0x13b, v2
	v_sub_u32_e32 v3, v4, v3
	v_mad_u32_u24 v10, v2, s0, v3
	v_mad_u64_u32 v[2:3], s[2:3], s20, v10, 0
	v_add_u32_e32 v11, 0x13b, v10
	v_add_co_u32_e32 v0, vcc, v72, v0
	v_mad_u64_u32 v[3:4], s[2:3], s21, v10, v[3:4]
	v_mad_u64_u32 v[4:5], s[2:3], s20, v11, 0
	v_addc_co_u32_e32 v1, vcc, v73, v1, vcc
	global_store_dwordx4 v[0:1], v[6:9], off
	v_lshlrev_b64 v[0:1], 4, v[2:3]
	v_mov_b32_e32 v2, v5
	v_mad_u64_u32 v[2:3], s[2:3], s21, v11, v[2:3]
	v_add_co_u32_e32 v0, vcc, v72, v0
	v_addc_co_u32_e32 v1, vcc, v73, v1, vcc
	v_mov_b32_e32 v5, v2
	global_store_dwordx4 v[0:1], v[58:61], off
	v_lshlrev_b64 v[0:1], 4, v[4:5]
	v_add_u32_e32 v4, 0x276, v10
	v_mad_u64_u32 v[2:3], s[2:3], s20, v4, 0
	v_add_u32_e32 v6, 0x3b1, v10
	v_add_co_u32_e32 v0, vcc, v72, v0
	v_mad_u64_u32 v[3:4], s[2:3], s21, v4, v[3:4]
	v_mad_u64_u32 v[4:5], s[2:3], s20, v6, 0
	v_addc_co_u32_e32 v1, vcc, v73, v1, vcc
	global_store_dwordx4 v[0:1], v[54:57], off
	v_lshlrev_b64 v[0:1], 4, v[2:3]
	v_mov_b32_e32 v2, v5
	v_mad_u64_u32 v[2:3], s[2:3], s21, v6, v[2:3]
	v_add_co_u32_e32 v0, vcc, v72, v0
	v_addc_co_u32_e32 v1, vcc, v73, v1, vcc
	v_mov_b32_e32 v5, v2
	global_store_dwordx4 v[0:1], v[24:27], off
	v_lshlrev_b64 v[0:1], 4, v[4:5]
	v_add_u32_e32 v4, 0x4ec, v10
	v_mad_u64_u32 v[2:3], s[2:3], s20, v4, 0
	v_add_u32_e32 v5, 0xfc, v154
	v_mul_hi_u32 v6, v5, s4
	v_mad_u64_u32 v[3:4], s[2:3], s21, v4, v[3:4]
	v_add_co_u32_e32 v0, vcc, v72, v0
	v_sub_u32_e32 v4, v5, v6
	v_lshrrev_b32_e32 v4, 1, v4
	v_add_u32_e32 v4, v4, v6
	v_lshrrev_b32_e32 v4, 8, v4
	v_mul_u32_u24_e32 v6, 0x13b, v4
	v_sub_u32_e32 v5, v5, v6
	v_mad_u32_u24 v6, v4, s0, v5
	v_mad_u64_u32 v[4:5], s[0:1], s20, v6, 0
	v_addc_co_u32_e32 v1, vcc, v73, v1, vcc
	global_store_dwordx4 v[0:1], v[50:53], off
	v_lshlrev_b64 v[0:1], 4, v[2:3]
	v_mov_b32_e32 v2, v5
	v_mad_u64_u32 v[2:3], s[0:1], s21, v6, v[2:3]
	v_add_co_u32_e32 v0, vcc, v72, v0
	v_addc_co_u32_e32 v1, vcc, v73, v1, vcc
	v_mov_b32_e32 v5, v2
	global_store_dwordx4 v[0:1], v[20:23], off
	v_lshlrev_b64 v[0:1], 4, v[4:5]
	v_add_u32_e32 v4, 0x13b, v6
	v_mad_u64_u32 v[2:3], s[0:1], s20, v4, 0
	v_add_u32_e32 v7, 0x276, v6
	v_add_co_u32_e32 v0, vcc, v72, v0
	v_mad_u64_u32 v[3:4], s[0:1], s21, v4, v[3:4]
	v_mad_u64_u32 v[4:5], s[0:1], s20, v7, 0
	v_addc_co_u32_e32 v1, vcc, v73, v1, vcc
	global_store_dwordx4 v[0:1], v[46:49], off
	v_lshlrev_b64 v[0:1], 4, v[2:3]
	v_mov_b32_e32 v2, v5
	v_mad_u64_u32 v[2:3], s[0:1], s21, v7, v[2:3]
	v_add_co_u32_e32 v0, vcc, v72, v0
	v_addc_co_u32_e32 v1, vcc, v73, v1, vcc
	v_mov_b32_e32 v5, v2
	global_store_dwordx4 v[0:1], v[42:45], off
	v_lshlrev_b64 v[0:1], 4, v[4:5]
	v_add_u32_e32 v4, 0x3b1, v6
	v_mad_u64_u32 v[2:3], s[0:1], s20, v4, 0
	v_add_u32_e32 v6, 0x4ec, v6
	v_add_co_u32_e32 v0, vcc, v72, v0
	v_mad_u64_u32 v[3:4], s[0:1], s21, v4, v[3:4]
	v_mad_u64_u32 v[4:5], s[0:1], s20, v6, 0
	v_addc_co_u32_e32 v1, vcc, v73, v1, vcc
	global_store_dwordx4 v[0:1], v[38:41], off
	v_lshlrev_b64 v[0:1], 4, v[2:3]
	v_mov_b32_e32 v2, v5
	v_mad_u64_u32 v[2:3], s[0:1], s21, v6, v[2:3]
	v_add_co_u32_e32 v0, vcc, v72, v0
	v_addc_co_u32_e32 v1, vcc, v73, v1, vcc
	v_mov_b32_e32 v5, v2
	global_store_dwordx4 v[0:1], v[34:37], off
	v_lshlrev_b64 v[0:1], 4, v[4:5]
	v_add_co_u32_e32 v0, vcc, v72, v0
	v_addc_co_u32_e32 v1, vcc, v73, v1, vcc
	global_store_dwordx4 v[0:1], v[28:31], off
.LBB0_37:
	s_endpgm
	.section	.rodata,"a",@progbits
	.p2align	6, 0x0
	.amdhsa_kernel fft_rtc_back_len1575_factors_3_3_5_7_5_wgs_63_tpt_63_halfLds_dp_op_CI_CI_sbrr_dirReg
		.amdhsa_group_segment_fixed_size 0
		.amdhsa_private_segment_fixed_size 0
		.amdhsa_kernarg_size 104
		.amdhsa_user_sgpr_count 6
		.amdhsa_user_sgpr_private_segment_buffer 1
		.amdhsa_user_sgpr_dispatch_ptr 0
		.amdhsa_user_sgpr_queue_ptr 0
		.amdhsa_user_sgpr_kernarg_segment_ptr 1
		.amdhsa_user_sgpr_dispatch_id 0
		.amdhsa_user_sgpr_flat_scratch_init 0
		.amdhsa_user_sgpr_private_segment_size 0
		.amdhsa_uses_dynamic_stack 0
		.amdhsa_system_sgpr_private_segment_wavefront_offset 0
		.amdhsa_system_sgpr_workgroup_id_x 1
		.amdhsa_system_sgpr_workgroup_id_y 0
		.amdhsa_system_sgpr_workgroup_id_z 0
		.amdhsa_system_sgpr_workgroup_info 0
		.amdhsa_system_vgpr_workitem_id 0
		.amdhsa_next_free_vgpr 254
		.amdhsa_next_free_sgpr 32
		.amdhsa_reserve_vcc 1
		.amdhsa_reserve_flat_scratch 0
		.amdhsa_float_round_mode_32 0
		.amdhsa_float_round_mode_16_64 0
		.amdhsa_float_denorm_mode_32 3
		.amdhsa_float_denorm_mode_16_64 3
		.amdhsa_dx10_clamp 1
		.amdhsa_ieee_mode 1
		.amdhsa_fp16_overflow 0
		.amdhsa_exception_fp_ieee_invalid_op 0
		.amdhsa_exception_fp_denorm_src 0
		.amdhsa_exception_fp_ieee_div_zero 0
		.amdhsa_exception_fp_ieee_overflow 0
		.amdhsa_exception_fp_ieee_underflow 0
		.amdhsa_exception_fp_ieee_inexact 0
		.amdhsa_exception_int_div_zero 0
	.end_amdhsa_kernel
	.text
.Lfunc_end0:
	.size	fft_rtc_back_len1575_factors_3_3_5_7_5_wgs_63_tpt_63_halfLds_dp_op_CI_CI_sbrr_dirReg, .Lfunc_end0-fft_rtc_back_len1575_factors_3_3_5_7_5_wgs_63_tpt_63_halfLds_dp_op_CI_CI_sbrr_dirReg
                                        ; -- End function
	.section	.AMDGPU.csdata,"",@progbits
; Kernel info:
; codeLenInByte = 22108
; NumSgprs: 36
; NumVgprs: 254
; ScratchSize: 0
; MemoryBound: 1
; FloatMode: 240
; IeeeMode: 1
; LDSByteSize: 0 bytes/workgroup (compile time only)
; SGPRBlocks: 4
; VGPRBlocks: 63
; NumSGPRsForWavesPerEU: 36
; NumVGPRsForWavesPerEU: 254
; Occupancy: 1
; WaveLimiterHint : 1
; COMPUTE_PGM_RSRC2:SCRATCH_EN: 0
; COMPUTE_PGM_RSRC2:USER_SGPR: 6
; COMPUTE_PGM_RSRC2:TRAP_HANDLER: 0
; COMPUTE_PGM_RSRC2:TGID_X_EN: 1
; COMPUTE_PGM_RSRC2:TGID_Y_EN: 0
; COMPUTE_PGM_RSRC2:TGID_Z_EN: 0
; COMPUTE_PGM_RSRC2:TIDIG_COMP_CNT: 0
	.type	__hip_cuid_b5dc74c97a2e43b3,@object ; @__hip_cuid_b5dc74c97a2e43b3
	.section	.bss,"aw",@nobits
	.globl	__hip_cuid_b5dc74c97a2e43b3
__hip_cuid_b5dc74c97a2e43b3:
	.byte	0                               ; 0x0
	.size	__hip_cuid_b5dc74c97a2e43b3, 1

	.ident	"AMD clang version 19.0.0git (https://github.com/RadeonOpenCompute/llvm-project roc-6.4.0 25133 c7fe45cf4b819c5991fe208aaa96edf142730f1d)"
	.section	".note.GNU-stack","",@progbits
	.addrsig
	.addrsig_sym __hip_cuid_b5dc74c97a2e43b3
	.amdgpu_metadata
---
amdhsa.kernels:
  - .args:
      - .actual_access:  read_only
        .address_space:  global
        .offset:         0
        .size:           8
        .value_kind:     global_buffer
      - .offset:         8
        .size:           8
        .value_kind:     by_value
      - .actual_access:  read_only
        .address_space:  global
        .offset:         16
        .size:           8
        .value_kind:     global_buffer
      - .actual_access:  read_only
        .address_space:  global
        .offset:         24
        .size:           8
        .value_kind:     global_buffer
      - .actual_access:  read_only
        .address_space:  global
        .offset:         32
        .size:           8
        .value_kind:     global_buffer
      - .offset:         40
        .size:           8
        .value_kind:     by_value
      - .actual_access:  read_only
        .address_space:  global
        .offset:         48
        .size:           8
        .value_kind:     global_buffer
      - .actual_access:  read_only
        .address_space:  global
        .offset:         56
        .size:           8
        .value_kind:     global_buffer
      - .offset:         64
        .size:           4
        .value_kind:     by_value
      - .actual_access:  read_only
        .address_space:  global
        .offset:         72
        .size:           8
        .value_kind:     global_buffer
      - .actual_access:  read_only
        .address_space:  global
        .offset:         80
        .size:           8
        .value_kind:     global_buffer
      - .actual_access:  read_only
        .address_space:  global
        .offset:         88
        .size:           8
        .value_kind:     global_buffer
      - .actual_access:  write_only
        .address_space:  global
        .offset:         96
        .size:           8
        .value_kind:     global_buffer
    .group_segment_fixed_size: 0
    .kernarg_segment_align: 8
    .kernarg_segment_size: 104
    .language:       OpenCL C
    .language_version:
      - 2
      - 0
    .max_flat_workgroup_size: 63
    .name:           fft_rtc_back_len1575_factors_3_3_5_7_5_wgs_63_tpt_63_halfLds_dp_op_CI_CI_sbrr_dirReg
    .private_segment_fixed_size: 0
    .sgpr_count:     36
    .sgpr_spill_count: 0
    .symbol:         fft_rtc_back_len1575_factors_3_3_5_7_5_wgs_63_tpt_63_halfLds_dp_op_CI_CI_sbrr_dirReg.kd
    .uniform_work_group_size: 1
    .uses_dynamic_stack: false
    .vgpr_count:     254
    .vgpr_spill_count: 0
    .wavefront_size: 64
amdhsa.target:   amdgcn-amd-amdhsa--gfx906
amdhsa.version:
  - 1
  - 2
...

	.end_amdgpu_metadata
